;; amdgpu-corpus repo=ROCm/rocFFT kind=compiled arch=gfx1201 opt=O3
	.text
	.amdgcn_target "amdgcn-amd-amdhsa--gfx1201"
	.amdhsa_code_object_version 6
	.protected	bluestein_single_back_len550_dim1_half_op_CI_CI ; -- Begin function bluestein_single_back_len550_dim1_half_op_CI_CI
	.globl	bluestein_single_back_len550_dim1_half_op_CI_CI
	.p2align	8
	.type	bluestein_single_back_len550_dim1_half_op_CI_CI,@function
bluestein_single_back_len550_dim1_half_op_CI_CI: ; @bluestein_single_back_len550_dim1_half_op_CI_CI
; %bb.0:
	s_load_b128 s[8:11], s[0:1], 0x28
	v_mul_u32_u24_e32 v1, 0x4a8, v0
	s_mov_b32 s2, exec_lo
	v_mov_b32_e32 v17, 0
	s_delay_alu instid0(VALU_DEP_2) | instskip(NEXT) | instid1(VALU_DEP_1)
	v_lshrrev_b32_e32 v1, 16, v1
	v_add_nc_u32_e32 v16, ttmp9, v1
	s_wait_kmcnt 0x0
	s_delay_alu instid0(VALU_DEP_1)
	v_cmpx_gt_u64_e64 s[8:9], v[16:17]
	s_cbranch_execz .LBB0_15
; %bb.1:
	s_clause 0x1
	s_load_b64 s[12:13], s[0:1], 0x0
	s_load_b64 s[8:9], s[0:1], 0x38
	v_mul_lo_u16 v1, v1, 55
	s_delay_alu instid0(VALU_DEP_1) | instskip(NEXT) | instid1(VALU_DEP_1)
	v_sub_nc_u16 v0, v0, v1
	v_and_b32_e32 v29, 0xffff, v0
	v_cmp_gt_u16_e32 vcc_lo, 50, v0
	s_delay_alu instid0(VALU_DEP_2)
	v_lshlrev_b32_e32 v30, 2, v29
	s_and_saveexec_b32 s3, vcc_lo
	s_cbranch_execz .LBB0_3
; %bb.2:
	s_load_b64 s[4:5], s[0:1], 0x18
	s_wait_kmcnt 0x0
	s_load_b128 s[4:7], s[4:5], 0x0
	s_wait_kmcnt 0x0
	v_mad_co_u64_u32 v[0:1], null, s6, v16, 0
	v_mad_co_u64_u32 v[2:3], null, s4, v29, 0
	s_delay_alu instid0(VALU_DEP_1) | instskip(NEXT) | instid1(VALU_DEP_1)
	v_mad_co_u64_u32 v[4:5], null, s7, v16, v[1:2]
	v_mad_co_u64_u32 v[5:6], null, s5, v29, v[3:4]
	v_mov_b32_e32 v1, v4
	s_mul_u64 s[4:5], s[4:5], 0xc8
	s_clause 0x7
	global_load_b32 v6, v30, s[12:13]
	global_load_b32 v7, v30, s[12:13] offset:200
	global_load_b32 v8, v30, s[12:13] offset:400
	;; [unrolled: 1-line block ×7, first 2 shown]
	v_lshlrev_b64_e32 v[0:1], 2, v[0:1]
	v_mov_b32_e32 v3, v5
	s_delay_alu instid0(VALU_DEP_2) | instskip(NEXT) | instid1(VALU_DEP_2)
	v_add_co_u32 v0, s2, s10, v0
	v_lshlrev_b64_e32 v[2:3], 2, v[2:3]
	s_delay_alu instid0(VALU_DEP_4) | instskip(NEXT) | instid1(VALU_DEP_2)
	v_add_co_ci_u32_e64 v1, s2, s11, v1, s2
	v_add_co_u32 v0, s2, v0, v2
	s_wait_alu 0xf1ff
	s_delay_alu instid0(VALU_DEP_2)
	v_add_co_ci_u32_e64 v1, s2, v1, v3, s2
	global_load_b32 v14, v[0:1], off
	s_wait_alu 0xfffe
	v_add_co_u32 v0, s2, v0, s4
	s_wait_alu 0xf1ff
	v_add_co_ci_u32_e64 v1, s2, s5, v1, s2
	s_clause 0x2
	global_load_b32 v15, v30, s[12:13] offset:1600
	global_load_b32 v17, v30, s[12:13] offset:1800
	;; [unrolled: 1-line block ×3, first 2 shown]
	v_add_co_u32 v2, s2, v0, s4
	s_wait_alu 0xf1ff
	v_add_co_ci_u32_e64 v3, s2, s5, v1, s2
	global_load_b32 v19, v[0:1], off
	v_add_co_u32 v0, s2, v2, s4
	s_wait_alu 0xf1ff
	v_add_co_ci_u32_e64 v1, s2, s5, v3, s2
	s_clause 0x1
	global_load_b32 v20, v[2:3], off
	global_load_b32 v21, v[0:1], off
	v_add_co_u32 v0, s2, v0, s4
	s_wait_alu 0xf1ff
	v_add_co_ci_u32_e64 v1, s2, s5, v1, s2
	s_delay_alu instid0(VALU_DEP_2) | instskip(SKIP_1) | instid1(VALU_DEP_2)
	v_add_co_u32 v2, s2, v0, s4
	s_wait_alu 0xf1ff
	v_add_co_ci_u32_e64 v3, s2, s5, v1, s2
	global_load_b32 v22, v[0:1], off
	v_add_co_u32 v0, s2, v2, s4
	s_wait_alu 0xf1ff
	v_add_co_ci_u32_e64 v1, s2, s5, v3, s2
	global_load_b32 v23, v[2:3], off
	;; [unrolled: 4-line block ×4, first 2 shown]
	v_add_co_u32 v2, s2, v0, s4
	s_wait_alu 0xf1ff
	v_add_co_ci_u32_e64 v3, s2, s5, v1, s2
	s_delay_alu instid0(VALU_DEP_2) | instskip(SKIP_1) | instid1(VALU_DEP_2)
	v_add_co_u32 v4, s2, v2, s4
	s_wait_alu 0xf1ff
	v_add_co_ci_u32_e64 v5, s2, s5, v3, s2
	global_load_b32 v0, v[0:1], off
	global_load_b32 v1, v[2:3], off
	;; [unrolled: 1-line block ×3, first 2 shown]
	s_wait_loadcnt 0x15
	v_lshrrev_b32_e32 v3, 16, v6
	s_wait_loadcnt 0x14
	v_lshrrev_b32_e32 v4, 16, v7
	;; [unrolled: 2-line block ×9, first 2 shown]
	v_mul_f16_e32 v36, v3, v14
	s_wait_loadcnt 0xc
	v_lshrrev_b32_e32 v34, 16, v15
	s_wait_loadcnt 0xb
	v_lshrrev_b32_e32 v35, 16, v17
	v_mul_f16_e32 v3, v3, v32
	v_fma_f16 v32, v6, v32, -v36
	s_wait_loadcnt 0xa
	v_lshrrev_b32_e32 v38, 16, v18
	s_wait_loadcnt 0x9
	v_lshrrev_b32_e32 v37, 16, v19
	v_mul_f16_e32 v39, v4, v19
	v_fmac_f16_e32 v3, v6, v14
	s_delay_alu instid0(VALU_DEP_3)
	v_mul_f16_e32 v4, v4, v37
	s_wait_loadcnt 0x8
	v_lshrrev_b32_e32 v6, 16, v20
	v_fma_f16 v14, v7, v37, -v39
	v_mul_f16_e32 v36, v5, v20
	v_pack_b32_f16 v3, v3, v32
	v_fmac_f16_e32 v4, v7, v19
	v_mul_f16_e32 v5, v5, v6
	s_wait_loadcnt 0x7
	v_lshrrev_b32_e32 v7, 16, v21
	v_mul_f16_e32 v19, v26, v21
	v_fma_f16 v6, v8, v6, -v36
	v_pack_b32_f16 v4, v4, v14
	v_fmac_f16_e32 v5, v8, v20
	s_wait_loadcnt 0x6
	v_lshrrev_b32_e32 v14, 16, v22
	v_mul_f16_e32 v8, v26, v7
	v_fma_f16 v7, v9, v7, -v19
	v_mul_f16_e32 v19, v27, v22
	ds_store_2addr_b32 v30, v3, v4 offset1:50
	v_mul_f16_e32 v4, v27, v14
	v_pack_b32_f16 v3, v5, v6
	v_fmac_f16_e32 v8, v9, v21
	s_wait_loadcnt 0x5
	v_lshrrev_b32_e32 v5, 16, v23
	v_fma_f16 v6, v10, v14, -v19
	v_mul_f16_e32 v9, v28, v23
	v_fmac_f16_e32 v4, v10, v22
	s_wait_loadcnt 0x4
	v_lshrrev_b32_e32 v10, 16, v24
	v_pack_b32_f16 v7, v8, v7
	v_mul_f16_e32 v8, v28, v5
	v_fma_f16 v5, v11, v5, -v9
	v_mul_f16_e32 v9, v31, v24
	v_pack_b32_f16 v4, v4, v6
	v_mul_f16_e32 v6, v31, v10
	v_fmac_f16_e32 v8, v11, v23
	s_wait_loadcnt 0x3
	v_lshrrev_b32_e32 v11, 16, v25
	v_mul_f16_e32 v14, v33, v25
	v_fma_f16 v9, v12, v10, -v9
	v_fmac_f16_e32 v6, v12, v24
	v_pack_b32_f16 v5, v8, v5
	v_mul_f16_e32 v8, v33, v11
	v_fma_f16 v10, v13, v11, -v14
	s_wait_loadcnt 0x2
	v_lshrrev_b32_e32 v11, 16, v0
	v_mul_f16_e32 v12, v34, v0
	v_pack_b32_f16 v6, v6, v9
	s_wait_loadcnt 0x1
	v_lshrrev_b32_e32 v9, 16, v1
	v_fmac_f16_e32 v8, v13, v25
	s_wait_loadcnt 0x0
	v_lshrrev_b32_e32 v13, 16, v2
	v_mul_f16_e32 v14, v34, v11
	v_fma_f16 v11, v15, v11, -v12
	v_mul_f16_e32 v12, v35, v1
	v_mul_f16_e32 v19, v35, v9
	;; [unrolled: 1-line block ×4, first 2 shown]
	v_fmac_f16_e32 v14, v15, v0
	v_fma_f16 v0, v17, v9, -v12
	v_fmac_f16_e32 v19, v17, v1
	v_fmac_f16_e32 v20, v18, v2
	v_fma_f16 v1, v18, v13, -v21
	v_pack_b32_f16 v2, v8, v10
	v_add_nc_u32_e32 v8, 0x400, v30
	v_pack_b32_f16 v9, v14, v11
	v_pack_b32_f16 v0, v19, v0
	;; [unrolled: 1-line block ×3, first 2 shown]
	ds_store_2addr_b32 v30, v3, v7 offset0:100 offset1:150
	ds_store_2addr_b32 v30, v4, v5 offset0:200 offset1:250
	;; [unrolled: 1-line block ×4, first 2 shown]
	ds_store_b32 v30, v1 offset:2000
.LBB0_3:
	s_or_b32 exec_lo, exec_lo, s3
	s_clause 0x1
	s_load_b64 s[2:3], s[0:1], 0x20
	s_load_b64 s[4:5], s[0:1], 0x8
	v_mov_b32_e32 v0, 0
	global_wb scope:SCOPE_SE
	s_wait_dscnt 0x0
	s_wait_kmcnt 0x0
	s_barrier_signal -1
	s_barrier_wait -1
	global_inv scope:SCOPE_SE
                                        ; implicit-def: $vgpr10
                                        ; implicit-def: $vgpr3
                                        ; implicit-def: $vgpr5
                                        ; implicit-def: $vgpr7
                                        ; implicit-def: $vgpr9
	s_and_saveexec_b32 s0, vcc_lo
	s_cbranch_execz .LBB0_5
; %bb.4:
	v_add_nc_u32_e32 v2, 0x400, v30
	ds_load_2addr_b32 v[0:1], v30 offset1:50
	ds_load_2addr_b32 v[8:9], v30 offset0:100 offset1:150
	ds_load_2addr_b32 v[6:7], v30 offset0:200 offset1:250
	;; [unrolled: 1-line block ×4, first 2 shown]
	ds_load_b32 v10, v30 offset:2000
.LBB0_5:
	s_wait_alu 0xfffe
	s_or_b32 exec_lo, exec_lo, s0
	s_wait_dscnt 0x0
	v_pk_add_f16 v11, v1, v10 neg_lo:[0,1] neg_hi:[0,1]
	v_pk_add_f16 v17, v10, v1
	v_pk_add_f16 v12, v8, v3 neg_lo:[0,1] neg_hi:[0,1]
	v_pk_add_f16 v18, v3, v8
	v_pk_add_f16 v13, v9, v2 neg_lo:[0,1] neg_hi:[0,1]
	v_lshrrev_b32_e32 v42, 16, v11
	v_lshrrev_b32_e32 v24, 16, v17
	v_mul_f16_e32 v37, 0xb853, v11
	v_lshrrev_b32_e32 v44, 16, v12
	v_lshrrev_b32_e32 v22, 16, v0
	v_mul_f16_e32 v35, 0xb853, v42
	v_lshrrev_b32_e32 v23, 16, v18
	v_mul_f16_e32 v34, 0xbb47, v12
	v_fma_f16 v14, v24, 0x3abb, -v37
	v_mul_f16_e32 v28, 0xbb47, v44
	v_fmamk_f16 v15, v17, 0x3abb, v35
	v_lshrrev_b32_e32 v45, 16, v13
	v_fma_f16 v20, v23, 0x36a6, -v34
	v_add_f16_e32 v21, v14, v22
	v_fmamk_f16 v25, v18, 0x36a6, v28
	v_add_f16_e32 v15, v15, v0
	v_pk_add_f16 v19, v2, v9
	v_mul_f16_e32 v36, 0xbbeb, v45
	v_pk_add_f16 v14, v6, v5 neg_lo:[0,1] neg_hi:[0,1]
	v_add_f16_e32 v27, v20, v21
	v_add_f16_e32 v15, v25, v15
	v_lshrrev_b32_e32 v25, 16, v19
	v_fmamk_f16 v20, v19, 0xb08e, v36
	v_mul_f16_e32 v39, 0xbbeb, v13
	v_lshrrev_b32_e32 v47, 16, v14
	v_pk_add_f16 v21, v5, v6
	v_mul_f16_e32 v43, 0xba0c, v14
	v_add_f16_e32 v31, v20, v15
	v_pk_add_f16 v15, v7, v4 neg_lo:[0,1] neg_hi:[0,1]
	v_fma_f16 v32, v25, 0xb08e, -v39
	v_mul_f16_e32 v40, 0xba0c, v47
	v_lshrrev_b32_e32 v26, 16, v21
	v_pk_add_f16 v20, v4, v7
	v_lshrrev_b32_e32 v46, 16, v15
	v_add_f16_e32 v32, v32, v27
	v_fmamk_f16 v33, v21, 0xb93d, v40
	v_fma_f16 v48, v26, 0xb93d, -v43
	v_lshrrev_b32_e32 v27, 16, v20
	v_mul_f16_e32 v38, 0xb482, v46
	v_mul_f16_e32 v41, 0xb482, v15
	v_add_f16_e32 v31, v33, v31
	v_add_f16_e32 v33, v48, v32
	global_wb scope:SCOPE_SE
	v_fmamk_f16 v32, v20, 0xbbad, v38
	v_fma_f16 v48, v27, 0xbbad, -v41
	s_barrier_signal -1
	s_barrier_wait -1
	global_inv scope:SCOPE_SE
	v_add_f16_e32 v32, v32, v31
	v_add_f16_e32 v33, v48, v33
	v_mul_lo_u16 v31, v29, 11
	s_and_saveexec_b32 s0, vcc_lo
	s_cbranch_execz .LBB0_7
; %bb.6:
	v_mul_f16_e32 v48, 0xba0c, v11
	v_mul_f16_e32 v52, 0x3beb, v12
	;; [unrolled: 1-line block ×5, first 2 shown]
	v_fmamk_f16 v53, v24, 0xb93d, v48
	v_fmamk_f16 v57, v23, 0xb08e, v52
	;; [unrolled: 1-line block ×3, first 2 shown]
	v_mul_f16_e32 v60, 0xb482, v14
	v_fmamk_f16 v61, v25, 0x3abb, v56
	v_add_f16_e32 v53, v53, v22
	v_fmamk_f16 v74, v23, 0xbbad, v71
	v_add_f16_e32 v70, v70, v22
	v_mul_f16_e32 v75, 0x3b47, v13
	v_fmamk_f16 v64, v26, 0xbbad, v60
	v_add_f16_e32 v53, v57, v53
	v_mul_f16_e32 v66, 0x36a6, v27
	v_add_f16_e32 v70, v74, v70
	v_fmamk_f16 v74, v25, 0x36a6, v75
	v_mul_f16_e32 v77, 0xb853, v14
	v_add_f16_e32 v53, v61, v53
	v_mul_f16_e32 v61, 0xba0c, v42
	v_fmamk_f16 v69, v15, 0x3b47, v66
	v_add_f16_e32 v70, v74, v70
	v_fmamk_f16 v74, v26, 0x3abb, v77
	v_add_f16_e32 v53, v64, v53
	v_mul_f16_e32 v79, 0xba0c, v15
	v_mul_f16_e32 v42, 0xbb47, v42
	;; [unrolled: 1-line block ×4, first 2 shown]
	v_add_f16_e32 v70, v74, v70
	v_fmamk_f16 v74, v27, 0xb93d, v79
	v_add_f16_e32 v53, v69, v53
	v_fma_f16 v69, v17, 0x36a6, -v42
	v_mul_f16_e32 v44, 0xba0c, v44
	v_mul_f16_e32 v49, 0x3abb, v17
	;; [unrolled: 1-line block ×4, first 2 shown]
	v_add_f16_e32 v70, v74, v70
	v_add_f16_e32 v69, v69, v0
	v_fma_f16 v74, v18, 0xb93d, -v44
	v_mul_f16_e32 v45, 0x3482, v45
	v_add_f16_e32 v37, v37, v50
	v_mul_f16_e32 v51, 0x36a6, v18
	v_mul_f16_e32 v58, 0xb08e, v25
	v_fma_f16 v64, v17, 0xb93d, -v61
	v_mul_f16_e32 v76, 0xb482, v47
	v_add_f16_e32 v69, v74, v69
	v_fma_f16 v74, v19, 0xbbad, -v45
	v_mul_f16_e32 v47, 0x3beb, v47
	v_sub_f16_e32 v35, v49, v35
	v_add_f16_e32 v37, v37, v22
	v_add_f16_e32 v34, v34, v54
	v_mul_f16_e32 v55, 0xb08e, v19
	v_mul_f16_e32 v57, 0xb93d, v26
	v_add_f16_e32 v64, v64, v0
	v_fma_f16 v72, v18, 0xb08e, -v68
	v_mul_f16_e32 v78, 0x3b47, v46
	v_add_f16_e32 v49, v74, v69
	v_fma_f16 v54, v21, 0xb08e, -v47
	v_add_f16_e32 v35, v35, v0
	v_sub_f16_e32 v28, v51, v28
	v_mul_f16_e32 v46, 0x3853, v46
	v_add_f16_e32 v34, v34, v37
	v_add_f16_e32 v37, v39, v58
	v_mul_f16_e32 v59, 0xb93d, v21
	v_mul_f16_e32 v63, 0xbbad, v27
	v_add_f16_e32 v64, v72, v64
	v_fma_f16 v72, v19, 0x3abb, -v73
	v_add_f16_e32 v39, v54, v49
	v_add_f16_e32 v28, v28, v35
	v_sub_f16_e32 v35, v55, v36
	v_fma_f16 v36, v20, 0x3abb, -v46
	v_add_f16_e32 v34, v37, v34
	v_add_f16_e32 v37, v43, v57
	v_mul_f16_e32 v62, 0xbbad, v20
	v_add_f16_e32 v64, v72, v64
	v_fma_f16 v72, v21, 0xbbad, -v76
	v_add_f16_e32 v28, v35, v28
	v_sub_f16_e32 v35, v59, v40
	v_add_f16_e32 v36, v36, v39
	v_add_f16_e32 v34, v37, v34
	v_fma_f16 v37, v24, 0xb93d, -v48
	v_add_f16_e32 v39, v41, v63
	v_fmac_f16_e32 v61, 0xb93d, v17
	v_add_f16_e32 v64, v72, v64
	v_fma_f16 v72, v20, 0x36a6, -v78
	v_add_f16_e32 v28, v35, v28
	v_sub_f16_e32 v35, v62, v38
	v_add_f16_e32 v37, v37, v22
	v_fma_f16 v38, v23, 0xb08e, -v52
	v_add_f16_e32 v34, v39, v34
	v_add_f16_e32 v39, v61, v0
	v_fmac_f16_e32 v68, 0xb08e, v18
	v_add_f16_e32 v64, v72, v64
	v_pk_mul_f16 v72, 0x36a6b08e, v17
	v_add_f16_e32 v28, v35, v28
	v_add_f16_e32 v35, v38, v37
	v_fma_f16 v24, v24, 0xb08e, -v67
	v_fma_f16 v37, v25, 0x3abb, -v56
	v_add_f16_e32 v38, v68, v39
	v_fmac_f16_e32 v73, 0x3abb, v19
	v_pk_add_f16 v1, v1, v0
	v_pk_mul_f16 v80, 0xb93dbbad, v18
	v_add_f16_e32 v24, v24, v22
	v_fma_f16 v23, v23, 0xbbad, -v71
	v_add_f16_e32 v35, v37, v35
	v_add_f16_e32 v37, v73, v38
	v_pk_fma_f16 v38, 0xbbebbb47, v11, v72 op_sel:[0,0,1] op_sel_hi:[1,1,0]
	v_pk_add_f16 v1, v8, v1
	v_add_f16_e32 v23, v23, v24
	v_fma_f16 v24, v25, 0x36a6, -v75
	v_pk_fma_f16 v40, 0x3482ba0c, v12, v80 op_sel:[0,0,1] op_sel_hi:[1,1,0]
	s_wait_alu 0xfffe
	v_alignbit_b32 v39, s0, v38, 16
	v_pk_add_f16 v1, v9, v1
	v_pk_mul_f16 v81, 0xbbad36a6, v19
	v_fma_f16 v25, v26, 0xbbad, -v60
	v_add_f16_e32 v23, v24, v23
	v_fma_f16 v24, v26, 0x3abb, -v77
	v_pk_add_f16 v26, v39, v0
	v_alignbit_b32 v39, s0, v40, 16
	v_pk_add_f16 v1, v6, v1
	v_pk_fma_f16 v41, 0x3b473482, v13, v81 op_sel:[0,0,1] op_sel_hi:[1,1,0]
	v_add_f16_e32 v23, v24, v23
	v_fma_f16 v24, v27, 0xb93d, -v79
	v_pk_add_f16 v26, v39, v26
	v_pk_fma_f16 v39, 0xbbebbb47, v11, v72 op_sel:[0,0,1] op_sel_hi:[1,1,0] neg_lo:[0,1,0] neg_hi:[0,1,0]
	v_pk_add_f16 v1, v7, v1
	v_alignbit_b32 v27, s0, v41, 16
	v_add_f16_e32 v23, v24, v23
	v_pk_fma_f16 v24, 0x3482ba0c, v12, v80 op_sel:[0,0,1] op_sel_hi:[1,1,0] neg_lo:[0,1,0] neg_hi:[0,1,0]
	v_pk_mul_f16 v82, 0xb08e3abb, v21
	v_pk_add_f16 v1, v4, v1
	v_bfi_b32 v4, 0xffff, v38, v39
	v_pk_add_f16 v8, v27, v26
	v_add_f16_e32 v22, v39, v22
	v_fmac_f16_e32 v42, 0x36a6, v17
	v_pk_fma_f16 v26, 0x3b473482, v13, v81 op_sel:[0,0,1] op_sel_hi:[1,1,0] neg_lo:[0,1,0] neg_hi:[0,1,0]
	v_pk_add_f16 v1, v5, v1
	v_pk_add_f16 v4, v4, v0 op_sel:[0,1] op_sel_hi:[1,0]
	v_bfi_b32 v5, 0xffff, v40, v24
	v_pk_fma_f16 v9, 0xb8533beb, v14, v82 op_sel:[0,0,1] op_sel_hi:[1,1,0]
	v_add_f16_e32 v22, v24, v22
	v_add_f16_e32 v27, v42, v0
	v_pk_fma_f16 v42, 0xb8533beb, v14, v82 op_sel:[0,0,1] op_sel_hi:[1,1,0] neg_lo:[0,1,0] neg_hi:[0,1,0]
	v_pk_add_f16 v1, v2, v1
	v_pk_add_f16 v2, v5, v4
	v_bfi_b32 v4, 0xffff, v41, v26
	v_pk_mul_f16 v5, 0xbbad, v17 op_sel_hi:[0,1]
	v_pk_mul_f16 v50, 0x3abbb93d, v20
	v_fmac_f16_e32 v44, 0xb93d, v18
	v_add_f16_e32 v22, v26, v22
	v_and_b32_e32 v24, 0xffff, v31
	v_pk_add_f16 v1, v3, v1
	v_pk_add_f16 v2, v4, v2
	v_pk_fma_f16 v3, 0xb482, v11, v5 op_sel:[0,0,1] op_sel_hi:[0,1,0] neg_lo:[0,1,0] neg_hi:[0,1,0]
	v_pk_mul_f16 v4, 0x3abb, v18 op_sel_hi:[0,1]
	v_bfi_b32 v18, 0xffff, v9, v42
	v_alignbit_b32 v6, s0, v0, 16
	v_add_f16_e32 v7, v44, v27
	v_pk_fma_f16 v27, 0xba0c3853, v15, v50 op_sel:[0,0,1] op_sel_hi:[1,1,0] neg_lo:[0,1,0] neg_hi:[0,1,0]
	v_add_f16_e32 v22, v42, v22
	v_lshlrev_b32_e32 v17, 2, v24
	v_pk_add_f16 v1, v10, v1
	v_pk_fma_f16 v10, 0xba0c3853, v15, v50 op_sel:[0,0,1] op_sel_hi:[1,1,0]
	v_alignbit_b32 v24, s0, v3, 16
	v_pk_fma_f16 v26, 0x3853, v12, v4 op_sel:[0,0,1] op_sel_hi:[0,1,0] neg_lo:[0,1,0] neg_hi:[0,1,0]
	v_pk_add_f16 v2, v18, v2
	v_pk_mul_f16 v18, 0xb93d, v19 op_sel_hi:[0,1]
	v_pk_fma_f16 v5, 0xb482, v11, v5 op_sel:[0,0,1] op_sel_hi:[0,1,0]
	v_fmac_f16_e32 v76, 0xbbad, v21
	v_fmac_f16_e32 v45, 0xbbad, v19
	;; [unrolled: 1-line block ×3, first 2 shown]
	v_add_f16_e32 v22, v27, v22
	v_bfi_b32 v10, 0xffff, v10, v27
	v_pk_add_f16 v19, v24, v0
	v_alignbit_b32 v24, s0, v26, 16
	v_pack_b32_f16 v27, v28, v34
	v_pk_fma_f16 v28, 0xba0c, v13, v18 op_sel:[0,0,1] op_sel_hi:[0,1,0] neg_lo:[0,1,0] neg_hi:[0,1,0]
	v_pk_mul_f16 v21, 0x36a6, v21 op_sel_hi:[0,1]
	v_pk_add_f16 v3, v3, v6
	v_pk_add_f16 v0, v5, v0 op_sel:[0,1] op_sel_hi:[1,0]
	v_pk_fma_f16 v4, 0x3853, v12, v4 op_sel:[0,0,1] op_sel_hi:[0,1,0]
	v_fmac_f16_e32 v78, 0x36a6, v20
	v_fmac_f16_e32 v46, 0x3abb, v20
	v_pk_add_f16 v2, v10, v2
	v_pk_add_f16 v10, v24, v19
	v_alignbit_b32 v11, s0, v28, 16
	v_pk_fma_f16 v19, 0x3b47, v14, v21 op_sel:[0,0,1] op_sel_hi:[0,1,0] neg_lo:[0,1,0] neg_hi:[0,1,0]
	v_pk_mul_f16 v20, 0xb08e, v20 op_sel_hi:[0,1]
	v_pk_add_f16 v3, v26, v3
	v_pk_add_f16 v0, v4, v0
	v_pk_fma_f16 v4, 0xba0c, v13, v18 op_sel:[0,0,1] op_sel_hi:[0,1,0]
	v_mul_f16_e32 v65, 0x3b47, v15
	v_pk_mul_f16 v43, 0xba0c3853, v15
	v_lshlrev_b32_e32 v8, 16, v8
	v_pk_add_f16 v5, v11, v10
	v_alignbit_b32 v6, s0, v19, 16
	v_pk_fma_f16 v10, 0xbbeb, v15, v20 op_sel:[0,0,1] op_sel_hi:[0,1,0] neg_lo:[0,1,0] neg_hi:[0,1,0]
	v_pk_add_f16 v3, v28, v3
	v_pk_add_f16 v0, v4, v0
	v_pk_fma_f16 v4, 0x3b47, v14, v21 op_sel:[0,0,1] op_sel_hi:[0,1,0]
	v_pk_add_f16 v11, v66, v65 neg_lo:[0,1] neg_hi:[0,1]
	v_pk_add_f16 v8, v9, v8
	v_pack_b32_f16 v9, v25, v50
	v_bfi_b32 v12, 0xffff, v35, v43
	v_add_f16_e32 v7, v45, v7
	v_pk_add_f16 v5, v6, v5
	v_alignbit_b32 v6, s0, v10, 16
	v_pk_add_f16 v3, v19, v3
	v_pk_add_f16 v0, v4, v0
	v_pk_fma_f16 v4, 0xbbeb, v15, v20 op_sel:[0,0,1] op_sel_hi:[0,1,0]
	v_add_f16_e32 v37, v76, v37
	v_bfi_b32 v8, 0xffff, v11, v8
	v_pk_add_f16 v9, v9, v12
	v_add_f16_e32 v7, v47, v7
	v_pk_add_f16 v3, v10, v3
	v_pk_add_f16 v0, v4, v0
	;; [unrolled: 1-line block ×3, first 2 shown]
	v_add_f16_e32 v37, v78, v37
	v_pk_add_f16 v5, v8, v9
	v_add_f16_e32 v7, v46, v7
	v_alignbit_b32 v11, v70, v2, 16
	v_pack_b32_f16 v2, v36, v2
	v_pack_b32_f16 v6, v64, v53
	v_alignbit_b32 v3, v3, v0, 16
	v_pack_b32_f16 v0, v4, v0
	v_alignbit_b32 v4, v23, v5, 16
	v_pack_b32_f16 v5, v37, v5
	v_pack_b32_f16 v7, v7, v22
	v_perm_b32 v8, v33, v32, 0x5040100
	ds_store_2addr_b32 v17, v1, v27 offset1:1
	ds_store_2addr_b32 v17, v2, v11 offset0:2 offset1:3
	ds_store_b32 v17, v6 offset:16
	ds_store_2addr_b32 v17, v0, v3 offset0:5 offset1:6
	ds_store_2addr_b32 v17, v5, v4 offset0:7 offset1:8
	;; [unrolled: 1-line block ×3, first 2 shown]
.LBB0_7:
	s_wait_alu 0xfffe
	s_or_b32 exec_lo, exec_lo, s0
	v_and_b32_e32 v0, 0xff, v29
	s_load_b128 s[0:3], s[2:3], 0x0
	global_wb scope:SCOPE_SE
	s_wait_dscnt 0x0
	s_wait_kmcnt 0x0
	s_barrier_signal -1
	s_barrier_wait -1
	v_mul_lo_u16 v0, 0x75, v0
	global_inv scope:SCOPE_SE
	v_add_nc_u32_e32 v23, 0x200, v30
	v_add_nc_u32_e32 v53, 0x400, v30
	v_lshlrev_b32_e32 v21, 4, v29
	v_lshrrev_b16 v0, 8, v0
	s_delay_alu instid0(VALU_DEP_2) | instskip(NEXT) | instid1(VALU_DEP_2)
	v_add_nc_u32_e32 v22, 0x370, v21
	v_sub_nc_u16 v1, v29, v0
	s_delay_alu instid0(VALU_DEP_1) | instskip(NEXT) | instid1(VALU_DEP_1)
	v_lshrrev_b16 v1, 1, v1
	v_and_b32_e32 v1, 0x7f, v1
	s_delay_alu instid0(VALU_DEP_1) | instskip(NEXT) | instid1(VALU_DEP_1)
	v_add_nc_u16 v0, v1, v0
	v_lshrrev_b16 v19, 3, v0
	s_delay_alu instid0(VALU_DEP_1) | instskip(SKIP_1) | instid1(VALU_DEP_2)
	v_mul_lo_u16 v0, v19, 11
	v_and_b32_e32 v19, 0xffff, v19
	v_sub_nc_u16 v0, v29, v0
	s_delay_alu instid0(VALU_DEP_2) | instskip(NEXT) | instid1(VALU_DEP_2)
	v_mul_u32_u24_e32 v19, 0x6e, v19
	v_and_b32_e32 v20, 0xff, v0
	s_delay_alu instid0(VALU_DEP_1) | instskip(NEXT) | instid1(VALU_DEP_3)
	v_mad_co_u64_u32 v[8:9], null, v20, 36, s[4:5]
	v_add_lshl_u32 v35, v19, v20, 2
	s_clause 0x2
	global_load_b128 v[4:7], v[8:9], off
	global_load_b128 v[0:3], v[8:9], off offset:16
	global_load_b32 v34, v[8:9], off offset:32
	ds_load_2addr_b32 v[8:9], v30 offset1:55
	ds_load_2addr_b32 v[10:11], v30 offset0:110 offset1:165
	ds_load_2addr_b32 v[12:13], v23 offset0:92 offset1:147
	;; [unrolled: 1-line block ×4, first 2 shown]
	global_wb scope:SCOPE_SE
	s_wait_loadcnt_dscnt 0x0
	s_barrier_signal -1
	s_barrier_wait -1
	global_inv scope:SCOPE_SE
	v_lshrrev_b32_e32 v28, 16, v12
	v_lshrrev_b32_e32 v25, 16, v9
	;; [unrolled: 1-line block ×19, first 2 shown]
	v_mul_f16_e32 v19, v25, v51
	v_mul_f16_e32 v20, v9, v51
	;; [unrolled: 1-line block ×18, first 2 shown]
	v_fma_f16 v9, v9, v4, -v19
	v_fmac_f16_e32 v20, v25, v4
	v_fma_f16 v10, v10, v5, -v41
	v_fmac_f16_e32 v42, v26, v5
	;; [unrolled: 2-line block ×9, first 2 shown]
	v_add_f16_e32 v19, v8, v10
	v_add_f16_e32 v25, v12, v14
	v_sub_f16_e32 v28, v10, v12
	v_sub_f16_e32 v36, v17, v14
	;; [unrolled: 1-line block ×4, first 2 shown]
	v_add_f16_e32 v40, v24, v42
	v_sub_f16_e32 v55, v42, v56
	v_sub_f16_e32 v57, v64, v60
	v_add_f16_e32 v63, v9, v11
	v_add_f16_e32 v65, v13, v15
	v_add_f16_e32 v74, v20, v54
	v_add_f16_e32 v75, v58, v62
	v_add_f16_e32 v71, v11, v18
	v_add_f16_e32 v79, v54, v66
	v_sub_f16_e32 v26, v42, v64
	v_sub_f16_e32 v27, v56, v60
	v_add_f16_e32 v37, v10, v17
	v_add_f16_e32 v41, v56, v60
	v_sub_f16_e32 v43, v12, v14
	v_add_f16_e32 v59, v42, v64
	v_sub_f16_e32 v42, v56, v42
	v_sub_f16_e32 v67, v54, v66
	v_sub_f16_e32 v69, v11, v13
	v_sub_f16_e32 v72, v13, v11
	v_sub_f16_e32 v11, v11, v18
	v_sub_f16_e32 v76, v13, v15
	v_add_f16_e32 v12, v19, v12
	v_fma_f16 v19, -0.5, v25, v8
	v_add_f16_e32 v25, v28, v36
	v_add_f16_e32 v28, v38, v39
	;; [unrolled: 1-line block ×5, first 2 shown]
	v_fma_f16 v40, -0.5, v65, v9
	v_add_f16_e32 v55, v74, v58
	v_fma_f16 v56, -0.5, v75, v20
	v_sub_f16_e32 v61, v60, v64
	v_sub_f16_e32 v68, v58, v62
	v_fmac_f16_e32 v9, -0.5, v71
	v_fmac_f16_e32 v20, -0.5, v79
	v_sub_f16_e32 v70, v18, v15
	v_sub_f16_e32 v73, v15, v18
	;; [unrolled: 1-line block ×5, first 2 shown]
	v_fmac_f16_e32 v8, -0.5, v37
	v_fma_f16 v37, -0.5, v41, v24
	v_fmac_f16_e32 v24, -0.5, v59
	v_add_f16_e32 v13, v13, v15
	v_fmamk_f16 v15, v67, 0x3b9c, v40
	v_add_f16_e32 v55, v55, v62
	v_fmamk_f16 v62, v11, 0xbb9c, v56
	v_sub_f16_e32 v54, v58, v54
	v_add_f16_e32 v39, v42, v61
	v_fmamk_f16 v61, v68, 0xbb9c, v9
	v_fmac_f16_e32 v9, 0x3b9c, v68
	v_fmamk_f16 v63, v76, 0x3b9c, v20
	v_fmac_f16_e32 v20, 0xbb9c, v76
	v_sub_f16_e32 v10, v10, v17
	v_fmac_f16_e32 v40, 0xbb9c, v67
	v_fmac_f16_e32 v56, 0x3b9c, v11
	v_add_f16_e32 v41, v69, v70
	v_add_f16_e32 v57, v77, v78
	;; [unrolled: 1-line block ×4, first 2 shown]
	v_fmamk_f16 v60, v43, 0x3b9c, v24
	v_fmac_f16_e32 v24, 0xbb9c, v43
	v_fmac_f16_e32 v15, 0x38b4, v68
	;; [unrolled: 1-line block ×3, first 2 shown]
	v_add_f16_e32 v42, v72, v73
	v_add_f16_e32 v54, v54, v80
	v_fmamk_f16 v14, v26, 0x3b9c, v19
	v_fmac_f16_e32 v19, 0xbb9c, v26
	v_fmamk_f16 v58, v27, 0xbb9c, v8
	v_fmac_f16_e32 v8, 0x3b9c, v27
	v_fmac_f16_e32 v61, 0x38b4, v67
	v_fmac_f16_e32 v9, 0xb8b4, v67
	v_fmac_f16_e32 v63, 0xb8b4, v11
	v_fmac_f16_e32 v20, 0x38b4, v11
	v_fmamk_f16 v59, v10, 0xbb9c, v37
	v_fmac_f16_e32 v37, 0x3b9c, v10
	v_fmac_f16_e32 v40, 0xb8b4, v68
	;; [unrolled: 1-line block ×3, first 2 shown]
	v_add_f16_e32 v12, v12, v17
	v_add_f16_e32 v17, v36, v64
	v_fmac_f16_e32 v60, 0xb8b4, v10
	v_fmac_f16_e32 v24, 0x38b4, v10
	v_add_f16_e32 v10, v13, v18
	v_add_f16_e32 v13, v55, v66
	v_fmac_f16_e32 v15, 0x34f2, v41
	v_fmac_f16_e32 v62, 0x34f2, v57
	;; [unrolled: 1-line block ×14, first 2 shown]
	v_add_f16_e32 v11, v12, v10
	v_add_f16_e32 v18, v17, v13
	v_sub_f16_e32 v10, v12, v10
	v_sub_f16_e32 v12, v17, v13
	v_mul_f16_e32 v13, 0x38b4, v62
	v_mul_f16_e32 v27, 0xb8b4, v15
	v_fmac_f16_e32 v14, 0x34f2, v25
	v_fmac_f16_e32 v19, 0x34f2, v25
	;; [unrolled: 1-line block ×4, first 2 shown]
	v_mul_f16_e32 v17, 0x3b9c, v63
	v_mul_f16_e32 v25, 0x34f2, v9
	;; [unrolled: 1-line block ×4, first 2 shown]
	v_fmac_f16_e32 v59, 0x34f2, v38
	v_fmac_f16_e32 v37, 0x34f2, v38
	v_mul_f16_e32 v26, 0x3a79, v40
	v_mul_f16_e32 v38, 0x3a79, v56
	v_fmac_f16_e32 v13, 0x3a79, v15
	v_fmac_f16_e32 v27, 0x3a79, v62
	v_fmac_f16_e32 v60, 0x34f2, v39
	v_fmac_f16_e32 v24, 0x34f2, v39
	v_pack_b32_f16 v10, v10, v12
	v_fmac_f16_e32 v17, 0x34f2, v61
	v_fma_f16 v12, v20, 0x3b9c, -v25
	v_fmac_f16_e32 v28, 0x34f2, v63
	v_fma_f16 v9, v9, 0xbb9c, -v36
	v_pack_b32_f16 v11, v11, v18
	v_fma_f16 v15, v56, 0x38b4, -v26
	v_fma_f16 v18, v40, 0xb8b4, -v38
	v_add_f16_e32 v20, v14, v13
	v_add_f16_e32 v38, v59, v27
	;; [unrolled: 1-line block ×8, first 2 shown]
	v_sub_f16_e32 v13, v14, v13
	v_sub_f16_e32 v14, v58, v17
	;; [unrolled: 1-line block ×8, first 2 shown]
	v_pack_b32_f16 v19, v20, v38
	v_pack_b32_f16 v20, v25, v39
	;; [unrolled: 1-line block ×8, first 2 shown]
	ds_store_2addr_b32 v35, v11, v19 offset1:11
	ds_store_2addr_b32 v35, v20, v24 offset0:22 offset1:33
	ds_store_2addr_b32 v35, v25, v10 offset0:44 offset1:55
	;; [unrolled: 1-line block ×4, first 2 shown]
	global_wb scope:SCOPE_SE
	s_wait_dscnt 0x0
	s_barrier_signal -1
	s_barrier_wait -1
	global_inv scope:SCOPE_SE
	s_clause 0x1
	global_load_b128 v[12:15], v21, s[4:5] offset:396
	global_load_b128 v[8:11], v22, s[4:5] offset:396
	ds_load_2addr_b32 v[17:18], v30 offset1:55
	ds_load_2addr_b32 v[19:20], v30 offset0:110 offset1:165
	ds_load_2addr_b32 v[21:22], v23 offset0:92 offset1:147
	ds_load_2addr_b32 v[24:25], v53 offset0:74 offset1:129
	ds_load_2addr_b32 v[26:27], v53 offset0:184 offset1:239
	s_wait_dscnt 0x4
	v_lshrrev_b32_e32 v55, 16, v17
	s_wait_dscnt 0x3
	v_lshrrev_b32_e32 v28, 16, v19
	;; [unrolled: 2-line block ×5, first 2 shown]
	v_lshrrev_b32_e32 v59, 16, v20
	v_lshrrev_b32_e32 v60, 16, v22
	;; [unrolled: 1-line block ×5, first 2 shown]
	s_wait_loadcnt 0x1
	v_lshrrev_b32_e32 v43, 16, v12
	v_lshrrev_b32_e32 v42, 16, v13
	;; [unrolled: 1-line block ×4, first 2 shown]
	s_wait_loadcnt 0x0
	v_lshrrev_b32_e32 v39, 16, v8
	v_lshrrev_b32_e32 v38, 16, v9
	;; [unrolled: 1-line block ×4, first 2 shown]
	v_mul_f16_e32 v63, v28, v43
	v_mul_f16_e32 v64, v19, v43
	;; [unrolled: 1-line block ×16, first 2 shown]
	v_fma_f16 v19, v19, v12, -v63
	v_fmac_f16_e32 v64, v28, v12
	v_fma_f16 v21, v21, v13, -v65
	v_fmac_f16_e32 v66, v56, v13
	v_fma_f16 v28, v24, v14, -v67
	v_fmac_f16_e32 v68, v57, v14
	v_fma_f16 v26, v26, v15, -v69
	v_fmac_f16_e32 v70, v58, v15
	v_fma_f16 v20, v20, v8, -v71
	v_fmac_f16_e32 v72, v59, v8
	v_fma_f16 v24, v22, v9, -v73
	v_fmac_f16_e32 v74, v60, v9
	v_fma_f16 v58, v25, v10, -v75
	v_fmac_f16_e32 v76, v61, v10
	v_fma_f16 v63, v27, v11, -v77
	v_fmac_f16_e32 v78, v62, v11
	v_add_f16_e32 v22, v17, v19
	v_add_f16_e32 v25, v21, v28
	v_sub_f16_e32 v27, v19, v21
	v_sub_f16_e32 v56, v26, v28
	v_add_f16_e32 v57, v19, v26
	v_sub_f16_e32 v59, v21, v19
	v_sub_f16_e32 v60, v28, v26
	v_add_f16_e32 v61, v55, v64
	v_add_f16_e32 v67, v66, v68
	v_sub_f16_e32 v69, v19, v26
	v_sub_f16_e32 v19, v64, v66
	v_sub_f16_e32 v73, v70, v68
	v_add_f16_e32 v79, v18, v20
	v_add_f16_e32 v80, v24, v58
	v_add_f16_e32 v88, v54, v72
	v_add_f16_e32 v89, v74, v76
	v_add_f16_e32 v75, v64, v70
	v_add_f16_e32 v85, v20, v63
	v_add_f16_e32 v93, v72, v78
	v_sub_f16_e32 v62, v64, v70
	v_sub_f16_e32 v65, v66, v68
	;; [unrolled: 1-line block ×11, first 2 shown]
	v_add_f16_e32 v21, v22, v21
	v_fma_f16 v25, -0.5, v25, v17
	v_add_f16_e32 v95, v27, v56
	v_fma_f16 v22, -0.5, v57, v17
	v_add_f16_e32 v96, v59, v60
	v_add_f16_e32 v17, v61, v66
	v_fma_f16 v57, -0.5, v67, v55
	v_add_f16_e32 v66, v19, v73
	v_add_f16_e32 v19, v79, v24
	v_fma_f16 v24, -0.5, v80, v18
	v_add_f16_e32 v59, v88, v74
	v_fma_f16 v56, -0.5, v89, v54
	v_sub_f16_e32 v82, v74, v76
	v_fmac_f16_e32 v55, -0.5, v75
	v_fmac_f16_e32 v18, -0.5, v85
	;; [unrolled: 1-line block ×3, first 2 shown]
	v_sub_f16_e32 v84, v63, v58
	v_sub_f16_e32 v72, v74, v72
	;; [unrolled: 1-line block ×3, first 2 shown]
	v_add_f16_e32 v74, v20, v92
	v_fmamk_f16 v20, v62, 0x3b9c, v25
	v_fmamk_f16 v61, v69, 0xbb9c, v57
	;; [unrolled: 1-line block ×3, first 2 shown]
	v_add_f16_e32 v76, v59, v76
	v_fmamk_f16 v59, v90, 0xbb9c, v56
	v_sub_f16_e32 v77, v68, v70
	v_sub_f16_e32 v87, v58, v63
	v_add_f16_e32 v75, v21, v28
	v_fmamk_f16 v21, v65, 0xbb9c, v22
	v_add_f16_e32 v17, v17, v68
	v_fmamk_f16 v60, v71, 0x3b9c, v55
	;; [unrolled: 2-line block ×3, first 2 shown]
	v_fmamk_f16 v58, v91, 0x3b9c, v54
	v_fmac_f16_e32 v22, 0x3b9c, v65
	v_fmac_f16_e32 v55, 0xbb9c, v71
	;; [unrolled: 1-line block ×8, first 2 shown]
	v_add_f16_e32 v67, v83, v84
	v_fmac_f16_e32 v20, 0x38b4, v65
	v_fmac_f16_e32 v61, 0xb8b4, v71
	;; [unrolled: 1-line block ×4, first 2 shown]
	v_add_f16_e32 v64, v64, v77
	v_add_f16_e32 v73, v86, v87
	;; [unrolled: 1-line block ×3, first 2 shown]
	v_fmac_f16_e32 v21, 0x38b4, v62
	v_fmac_f16_e32 v60, 0xb8b4, v69
	;; [unrolled: 1-line block ×12, first 2 shown]
	v_add_f16_e32 v19, v75, v26
	v_add_f16_e32 v17, v17, v70
	v_add_f16_e32 v26, v68, v63
	v_add_f16_e32 v62, v76, v78
	v_fmac_f16_e32 v20, 0x34f2, v95
	v_fmac_f16_e32 v61, 0x34f2, v66
	;; [unrolled: 1-line block ×16, first 2 shown]
	v_pack_b32_f16 v63, v19, v17
	v_pack_b32_f16 v64, v26, v62
	;; [unrolled: 1-line block ×10, first 2 shown]
	ds_store_2addr_b32 v30, v63, v64 offset1:55
	ds_store_2addr_b32 v30, v65, v69 offset0:110 offset1:165
	ds_store_2addr_b32 v23, v66, v70 offset0:92 offset1:147
	;; [unrolled: 1-line block ×4, first 2 shown]
	global_wb scope:SCOPE_SE
	s_wait_dscnt 0x0
	s_barrier_signal -1
	s_barrier_wait -1
	global_inv scope:SCOPE_SE
	s_and_saveexec_b32 s4, vcc_lo
	s_cbranch_execz .LBB0_9
; %bb.8:
	global_load_b32 v63, v30, s[12:13] offset:2200
	s_add_nc_u64 s[6:7], s[12:13], 0x898
	s_clause 0x9
	global_load_b32 v73, v30, s[6:7] offset:200
	global_load_b32 v74, v30, s[6:7] offset:400
	;; [unrolled: 1-line block ×10, first 2 shown]
	ds_load_b32 v64, v30
	s_wait_dscnt 0x0
	v_lshrrev_b32_e32 v65, 16, v64
	s_wait_loadcnt 0x9
	v_lshrrev_b32_e32 v83, 16, v73
	s_wait_loadcnt 0x8
	;; [unrolled: 2-line block ×6, first 2 shown]
	v_lshrrev_b32_e32 v88, 16, v78
	v_lshrrev_b32_e32 v66, 16, v63
	s_wait_loadcnt 0x3
	v_lshrrev_b32_e32 v89, 16, v79
	s_wait_loadcnt 0x2
	;; [unrolled: 2-line block ×4, first 2 shown]
	v_lshrrev_b32_e32 v92, 16, v82
	v_mul_f16_e32 v67, v65, v66
	v_mul_f16_e32 v66, v64, v66
	s_delay_alu instid0(VALU_DEP_2) | instskip(NEXT) | instid1(VALU_DEP_2)
	v_fma_f16 v64, v64, v63, -v67
	v_fmac_f16_e32 v66, v65, v63
	s_delay_alu instid0(VALU_DEP_1)
	v_pack_b32_f16 v63, v64, v66
	ds_store_b32 v30, v63
	ds_load_2addr_b32 v[63:64], v30 offset0:50 offset1:100
	ds_load_2addr_b32 v[65:66], v30 offset0:150 offset1:200
	;; [unrolled: 1-line block ×5, first 2 shown]
	s_wait_dscnt 0x4
	v_lshrrev_b32_e32 v93, 16, v63
	v_lshrrev_b32_e32 v95, 16, v64
	s_wait_dscnt 0x3
	v_lshrrev_b32_e32 v97, 16, v65
	v_lshrrev_b32_e32 v99, 16, v66
	s_wait_dscnt 0x2
	v_lshrrev_b32_e32 v101, 16, v67
	v_lshrrev_b32_e32 v103, 16, v68
	s_wait_dscnt 0x1
	v_lshrrev_b32_e32 v105, 16, v69
	v_lshrrev_b32_e32 v107, 16, v70
	s_wait_dscnt 0x0
	v_lshrrev_b32_e32 v109, 16, v71
	v_lshrrev_b32_e32 v111, 16, v72
	v_mul_f16_e32 v94, v63, v83
	v_mul_f16_e32 v96, v64, v84
	;; [unrolled: 1-line block ×20, first 2 shown]
	v_fmac_f16_e32 v94, v93, v73
	v_fmac_f16_e32 v96, v95, v74
	v_fma_f16 v63, v63, v73, -v83
	v_fma_f16 v64, v64, v74, -v84
	v_fmac_f16_e32 v98, v97, v75
	v_fmac_f16_e32 v100, v99, v76
	v_fma_f16 v65, v65, v75, -v85
	v_fma_f16 v66, v66, v76, -v86
	;; [unrolled: 4-line block ×5, first 2 shown]
	v_pack_b32_f16 v63, v63, v94
	v_pack_b32_f16 v64, v64, v96
	;; [unrolled: 1-line block ×10, first 2 shown]
	ds_store_2addr_b32 v30, v63, v64 offset0:50 offset1:100
	ds_store_2addr_b32 v30, v65, v66 offset0:150 offset1:200
	;; [unrolled: 1-line block ×5, first 2 shown]
.LBB0_9:
	s_wait_alu 0xfffe
	s_or_b32 exec_lo, exec_lo, s4
	global_wb scope:SCOPE_SE
	s_wait_dscnt 0x0
	s_barrier_signal -1
	s_barrier_wait -1
	global_inv scope:SCOPE_SE
	s_and_saveexec_b32 s4, vcc_lo
	s_cbranch_execz .LBB0_11
; %bb.10:
	v_add_nc_u32_e32 v17, 0x400, v30
	ds_load_2addr_b32 v[19:20], v30 offset1:50
	ds_load_2addr_b32 v[21:22], v30 offset0:100 offset1:150
	ds_load_2addr_b32 v[25:26], v30 offset0:200 offset1:250
	ds_load_b32 v32, v30 offset:2000
	ds_load_2addr_b32 v[27:28], v17 offset0:44 offset1:94
	ds_load_2addr_b32 v[23:24], v17 offset0:144 offset1:194
	s_wait_dscnt 0x5
	v_lshrrev_b32_e32 v17, 16, v19
	v_lshrrev_b32_e32 v61, 16, v20
	s_wait_dscnt 0x4
	v_lshrrev_b32_e32 v60, 16, v21
	s_wait_dscnt 0x0
	v_mov_b32_e32 v18, v23
	v_lshrrev_b32_e32 v55, 16, v22
	v_lshrrev_b32_e32 v57, 16, v25
	;; [unrolled: 1-line block ×8, first 2 shown]
.LBB0_11:
	s_wait_alu 0xfffe
	s_or_b32 exec_lo, exec_lo, s4
	global_wb scope:SCOPE_SE
	s_barrier_signal -1
	s_barrier_wait -1
	global_inv scope:SCOPE_SE
	s_and_saveexec_b32 s4, vcc_lo
	s_cbranch_execz .LBB0_13
; %bb.12:
	v_add_f16_e32 v23, v33, v61
	v_sub_f16_e32 v53, v20, v32
	v_add_f16_e32 v63, v56, v60
	v_sub_f16_e32 v64, v21, v24
	v_add_f16_e32 v65, v54, v55
	v_mul_f16_e32 v66, 0xbbad, v23
	v_sub_f16_e32 v67, v22, v18
	v_mul_f16_e32 v70, 0x3abb, v63
	v_sub_f16_e32 v73, v61, v33
	v_mul_f16_e32 v74, 0xb93d, v65
	v_fmamk_f16 v71, v53, 0x3482, v66
	v_add_f16_e32 v72, v32, v20
	v_fmamk_f16 v75, v64, 0xb853, v70
	v_sub_f16_e32 v76, v60, v56
	v_fmamk_f16 v79, v67, 0x3a0c, v74
	v_add_f16_e32 v71, v17, v71
	v_mul_f16_e32 v108, 0xbbeb, v73
	v_mul_f16_e32 v78, 0xb482, v73
	;; [unrolled: 1-line block ×3, first 2 shown]
	v_add_f16_e32 v85, v18, v22
	v_add_f16_e32 v71, v75, v71
	;; [unrolled: 1-line block ×3, first 2 shown]
	v_fmamk_f16 v112, v72, 0xb08e, v108
	v_sub_f16_e32 v88, v57, v58
	v_add_f16_e32 v20, v20, v19
	v_add_f16_e32 v71, v79, v71
	v_sub_f16_e32 v79, v55, v54
	v_add_f16_e32 v112, v19, v112
	v_fmamk_f16 v115, v75, 0xbbad, v113
	v_mul_f16_e32 v80, 0x3853, v76
	v_fmamk_f16 v81, v72, 0xbbad, v78
	v_mul_f16_e32 v116, 0x3b47, v79
	v_add_f16_e32 v90, v28, v25
	v_add_f16_e32 v112, v115, v112
	v_mul_f16_e32 v118, 0xb853, v88
	v_add_f16_e32 v20, v21, v20
	v_fmamk_f16 v115, v85, 0x36a6, v116
	v_add_f16_e32 v68, v58, v57
	v_add_f16_e32 v81, v19, v81
	v_fmamk_f16 v84, v75, 0x3abb, v80
	v_mul_f16_e32 v86, 0xba0c, v79
	v_add_f16_e32 v112, v115, v112
	v_fmamk_f16 v115, v90, 0x3abb, v118
	v_add_f16_e32 v20, v22, v20
	v_sub_f16_e32 v69, v25, v28
	v_mul_f16_e32 v77, 0x36a6, v68
	v_add_f16_e32 v83, v59, v62
	v_add_f16_e32 v81, v84, v81
	v_fmamk_f16 v84, v85, 0xb93d, v86
	v_mul_f16_e32 v91, 0x3b47, v88
	v_mul_f16_e32 v96, 0xba0c, v73
	v_add_f16_e32 v112, v115, v112
	v_mul_f16_e32 v115, 0xbb47, v73
	v_add_f16_e32 v61, v61, v17
	;; [unrolled: 2-line block ×3, first 2 shown]
	v_fmamk_f16 v82, v69, 0xbb47, v77
	v_mul_f16_e32 v87, 0xb08e, v83
	v_sub_f16_e32 v89, v26, v27
	v_add_f16_e32 v81, v84, v81
	v_fmamk_f16 v84, v90, 0x36a6, v91
	v_mul_f16_e32 v92, 0xb93d, v23
	v_add_f16_e32 v21, v60, v61
	v_fmamk_f16 v60, v72, 0x3abb, v73
	v_mul_f16_e32 v61, 0xbb47, v76
	v_add_f16_e32 v20, v26, v20
	v_add_f16_e32 v71, v82, v71
	v_fmamk_f16 v82, v89, 0x3beb, v87
	v_add_f16_e32 v81, v84, v81
	v_fmamk_f16 v84, v53, 0x3a0c, v92
	v_mul_f16_e32 v93, 0xb08e, v63
	v_add_f16_e32 v21, v55, v21
	v_add_f16_e32 v22, v19, v60
	v_fmamk_f16 v55, v75, 0x36a6, v61
	v_mul_f16_e32 v60, 0xbbeb, v79
	v_add_f16_e32 v20, v27, v20
	v_add_f16_e32 v71, v82, v71
	v_sub_f16_e32 v82, v62, v59
	v_add_f16_e32 v84, v17, v84
	v_fmamk_f16 v97, v64, 0xbbeb, v93
	v_mul_f16_e32 v98, 0x3abb, v65
	v_add_f16_e32 v21, v57, v21
	v_add_f16_e32 v22, v55, v22
	v_fmamk_f16 v55, v85, 0xb08e, v60
	v_mul_f16_e32 v57, 0xba0c, v88
	v_add_f16_e32 v20, v28, v20
	v_add_f16_e32 v94, v27, v26
	;; [unrolled: 1-line block ×3, first 2 shown]
	v_fmamk_f16 v97, v67, 0x3853, v98
	v_mul_f16_e32 v102, 0xbbad, v68
	v_add_f16_e32 v22, v55, v22
	v_fmamk_f16 v27, v90, 0xb93d, v57
	v_mul_f16_e32 v55, 0xb482, v82
	v_add_f16_e32 v18, v18, v20
	v_mul_f16_e32 v95, 0xbbeb, v82
	v_add_f16_e32 v84, v97, v84
	v_fmamk_f16 v97, v69, 0x3482, v102
	v_mul_f16_e32 v105, 0x36a6, v83
	v_add_f16_e32 v22, v27, v22
	v_fmamk_f16 v27, v94, 0xbbad, v55
	v_add_f16_e32 v18, v24, v18
	v_fma_f16 v24, v72, 0xbbad, -v78
	v_fmamk_f16 v99, v94, 0xb08e, v95
	v_fmamk_f16 v100, v72, 0xb93d, v96
	v_mul_f16_e32 v101, 0x3beb, v76
	v_add_f16_e32 v84, v97, v84
	v_fmamk_f16 v97, v89, 0xbb47, v105
	v_mul_f16_e32 v107, 0xb08e, v23
	v_add_f16_e32 v22, v27, v22
	v_add_f16_e32 v24, v19, v24
	v_fma_f16 v27, v75, 0x3abb, -v80
	v_add_f16_e32 v100, v19, v100
	v_fmamk_f16 v103, v75, 0xb08e, v101
	v_mul_f16_e32 v104, 0xb853, v79
	v_add_f16_e32 v81, v99, v81
	v_add_f16_e32 v84, v97, v84
	v_fmamk_f16 v97, v53, 0x3beb, v107
	v_mul_f16_e32 v99, 0xbbad, v63
	v_add_f16_e32 v21, v62, v21
	v_add_f16_e32 v24, v27, v24
	v_fma_f16 v27, v85, 0xb93d, -v86
	v_add_f16_e32 v100, v103, v100
	v_fmamk_f16 v103, v85, 0x3abb, v104
	v_mul_f16_e32 v106, 0xb482, v88
	v_add_f16_e32 v97, v17, v97
	v_fmamk_f16 v109, v64, 0xb482, v99
	v_mul_f16_e32 v110, 0x36a6, v65
	v_add_f16_e32 v21, v59, v21
	v_add_f16_e32 v24, v27, v24
	v_fma_f16 v27, v90, 0x36a6, -v91
	v_add_f16_e32 v100, v103, v100
	v_fmamk_f16 v103, v90, 0xbbad, v106
	v_add_f16_e32 v97, v109, v97
	v_fmamk_f16 v109, v67, 0xbb47, v110
	v_mul_f16_e32 v114, 0x3abb, v68
	v_add_f16_e32 v21, v58, v21
	v_add_f16_e32 v24, v27, v24
	v_fma_f16 v27, v94, 0xb08e, -v95
	v_add_f16_e32 v100, v103, v100
	v_mul_f16_e32 v103, 0x3b47, v82
	v_add_f16_e32 v97, v109, v97
	v_fmamk_f16 v109, v69, 0x3853, v114
	v_add_f16_e32 v20, v54, v21
	v_add_f16_e32 v24, v27, v24
	v_fma_f16 v27, v72, 0xb08e, -v108
	v_fmamk_f16 v111, v94, 0x36a6, v103
	v_mul_f16_e32 v117, 0xb93d, v83
	v_add_f16_e32 v97, v109, v97
	v_mul_f16_e32 v109, 0x36a6, v23
	v_add_f16_e32 v20, v56, v20
	v_add_f16_e32 v18, v32, v18
	v_fma_f16 v32, v72, 0xb93d, -v96
	v_add_f16_e32 v27, v19, v27
	v_fma_f16 v54, v75, 0xbbad, -v113
	v_fmamk_f16 v123, v72, 0x36a6, v115
	v_mul_f16_e32 v124, 0xba0c, v76
	v_fmamk_f16 v119, v89, 0x3a0c, v117
	v_add_f16_e32 v100, v111, v100
	v_fmamk_f16 v111, v53, 0x3b47, v109
	v_mul_f16_e32 v120, 0xb93d, v63
	v_add_f16_e32 v20, v33, v20
	v_add_f16_e32 v32, v19, v32
	v_fma_f16 v33, v75, 0xb08e, -v101
	v_fmac_f16_e32 v109, 0xbb47, v53
	v_add_f16_e32 v27, v54, v27
	v_fma_f16 v54, v85, 0x36a6, -v116
	v_add_f16_e32 v123, v19, v123
	v_fmamk_f16 v126, v75, 0xb93d, v124
	v_mul_f16_e32 v127, 0x3482, v79
	v_add_f16_e32 v97, v119, v97
	v_add_f16_e32 v111, v17, v111
	v_fmamk_f16 v119, v64, 0x3a0c, v120
	v_mul_f16_e32 v121, 0xbbad, v65
	v_mul_f16_e32 v122, 0xba0c, v82
	v_add_f16_e32 v32, v33, v32
	v_fma_f16 v33, v85, 0x3abb, -v104
	v_add_f16_e32 v58, v17, v109
	v_fmac_f16_e32 v120, 0xba0c, v64
	v_add_f16_e32 v27, v54, v27
	v_fma_f16 v54, v90, 0x3abb, -v118
	v_add_f16_e32 v123, v126, v123
	v_fmamk_f16 v126, v85, 0xbbad, v127
	v_mul_f16_e64 v129, 0x3beb, v88
	v_mul_f16_e32 v23, 0x3abb, v23
	v_fmac_f16_e32 v66, 0xb482, v53
	v_add_f16_e32 v111, v119, v111
	v_fmamk_f16 v119, v67, 0xb482, v121
	v_mul_f16_e32 v125, 0xb08e, v68
	v_add_f16_e32 v32, v33, v32
	v_fma_f16 v33, v90, 0xbbad, -v106
	v_add_f16_e32 v58, v120, v58
	v_fmac_f16_e32 v121, 0x3482, v67
	v_add_f16_e32 v27, v54, v27
	v_fma_f16 v54, v94, 0xb93d, -v122
	v_add_f16_e32 v123, v126, v123
	v_fma_f16 v126, 0xb08e, v90, v129
	v_mul_f16_e64 v130, 0x3853, v82
	v_fma_f16 v131, 0x3853, v53, v23
	v_mul_f16_e32 v63, 0x36a6, v63
	v_add_f16_e32 v28, v17, v66
	v_fmac_f16_e32 v70, 0x3853, v64
	v_fmac_f16_e32 v92, 0xba0c, v53
	v_add_f16_e32 v111, v119, v111
	v_fmamk_f16 v119, v69, 0xbbeb, v125
	v_fmac_f16_e32 v107, 0xbbeb, v53
	v_add_f16_e32 v32, v33, v32
	v_fma_f16 v56, v94, 0x36a6, -v103
	v_add_f16_e32 v58, v121, v58
	v_fmac_f16_e32 v125, 0x3beb, v69
	v_add_f16_e32 v27, v54, v27
	v_fma_f16 v54, v72, 0x36a6, -v115
	v_fma_f16 v128, 0xb93d, v94, v122
	v_add_f16_e32 v123, v126, v123
	v_fma_f16 v126, 0x3abb, v94, v130
	v_add_f16_e64 v131, v17, v131
	v_fma_f16 v133, 0x3b47, v64, v63
	v_mul_f16_e32 v65, 0xb08e, v65
	v_fmac_f16_e32 v23, 0xb853, v53
	v_fma_f16 v53, v72, 0x3abb, -v73
	v_add_f16_e32 v21, v70, v28
	v_add_f16_e32 v28, v17, v92
	v_fmac_f16_e32 v93, 0x3beb, v64
	v_add_f16_e32 v33, v17, v107
	v_fmac_f16_e32 v99, 0x3482, v64
	v_add_f16_e32 v32, v56, v32
	v_add_f16_e32 v56, v125, v58
	;; [unrolled: 1-line block ×3, first 2 shown]
	v_fma_f16 v58, v75, 0xb93d, -v124
	v_add_f16_e64 v112, v128, v112
	v_add_f16_e32 v123, v126, v123
	v_add_f16_e64 v126, v133, v131
	v_fma_f16 v128, 0x3beb, v67, v65
	v_mul_f16_e32 v68, 0xb93d, v68
	v_add_f16_e32 v17, v17, v23
	v_fmac_f16_e32 v63, 0xbb47, v64
	v_add_f16_e32 v19, v19, v53
	v_fma_f16 v23, v75, 0x36a6, -v61
	v_fmac_f16_e32 v74, 0xba0c, v67
	v_add_f16_e32 v28, v93, v28
	v_fmac_f16_e32 v98, 0xb853, v67
	v_add_f16_e32 v33, v99, v33
	;; [unrolled: 2-line block ×3, first 2 shown]
	v_fma_f16 v54, v85, 0xbbad, -v127
	v_add_f16_e64 v126, v128, v126
	v_fma_f16 v128, 0x3a0c, v69, v68
	v_mul_f16_e32 v25, 0xbbad, v83
	v_add_f16_e32 v17, v63, v17
	v_fmac_f16_e32 v65, 0xbbeb, v67
	v_add_f16_e32 v19, v23, v19
	v_fma_f16 v23, v85, 0xb08e, -v60
	v_add_f16_e32 v111, v119, v111
	v_mul_f16_e32 v119, 0x3abb, v83
	v_add_f16_e32 v21, v74, v21
	v_fmac_f16_e32 v77, 0x3b47, v69
	v_add_f16_e32 v28, v98, v28
	v_fmac_f16_e32 v102, 0xb482, v69
	;; [unrolled: 2-line block ×3, first 2 shown]
	v_add_f16_e32 v53, v54, v53
	v_fma_f16 v54, v90, 0xb08e, -v129
	v_add_f16_e64 v76, v128, v126
	v_fmamk_f16 v26, v89, 0x3482, v25
	v_add_f16_e32 v17, v65, v17
	v_fmac_f16_e32 v68, 0xba0c, v69
	v_add_f16_e32 v19, v23, v19
	v_fma_f16 v23, v90, 0xb93d, -v57
	v_fma_f16 v132, 0xb853, v89, v119
	v_add_f16_e32 v21, v77, v21
	v_fmac_f16_e32 v87, 0xbbeb, v89
	v_add_f16_e32 v28, v102, v28
	v_fmac_f16_e32 v105, 0x3b47, v89
	;; [unrolled: 2-line block ×3, first 2 shown]
	v_fmac_f16_e32 v119, 0x3853, v89
	v_add_f16_e32 v53, v54, v53
	v_fma_f16 v54, v94, 0x3abb, -v130
	v_add_f16_e32 v26, v26, v76
	v_add_f16_e32 v17, v68, v17
	v_fmac_f16_e32 v25, 0xb482, v89
	v_add_f16_e32 v19, v23, v19
	v_fma_f16 v23, v94, 0xbbad, -v55
	v_and_b32_e32 v31, 0xffff, v31
	v_add_f16_e64 v111, v132, v111
	v_add_f16_e32 v21, v87, v21
	v_add_f16_e32 v28, v105, v28
	;; [unrolled: 1-line block ×7, first 2 shown]
	v_lshlrev_b32_e32 v23, 2, v31
	v_pack_b32_f16 v22, v22, v26
	v_pack_b32_f16 v18, v18, v20
	;; [unrolled: 1-line block ×11, first 2 shown]
	ds_store_2addr_b32 v23, v18, v22 offset1:1
	ds_store_2addr_b32 v23, v25, v20 offset0:2 offset1:3
	ds_store_2addr_b32 v23, v31, v26 offset0:4 offset1:5
	;; [unrolled: 1-line block ×4, first 2 shown]
	ds_store_b32 v23, v17 offset:40
.LBB0_13:
	s_wait_alu 0xfffe
	s_or_b32 exec_lo, exec_lo, s4
	global_wb scope:SCOPE_SE
	s_wait_dscnt 0x0
	s_barrier_signal -1
	s_barrier_wait -1
	global_inv scope:SCOPE_SE
	ds_load_2addr_b32 v[19:20], v30 offset1:55
	ds_load_2addr_b32 v[21:22], v30 offset0:110 offset1:165
	v_add_nc_u32_e32 v18, 0x200, v30
	v_add_nc_u32_e32 v17, 0x400, v30
	ds_load_2addr_b32 v[23:24], v18 offset0:92 offset1:147
	ds_load_2addr_b32 v[25:26], v17 offset0:74 offset1:129
	;; [unrolled: 1-line block ×3, first 2 shown]
	global_wb scope:SCOPE_SE
	s_wait_dscnt 0x0
	s_barrier_signal -1
	s_barrier_wait -1
	global_inv scope:SCOPE_SE
	v_lshrrev_b32_e32 v32, 16, v20
	v_lshrrev_b32_e32 v33, 16, v21
	v_mul_f16_e32 v54, v51, v20
	v_mul_f16_e32 v55, v52, v21
	v_lshrrev_b32_e32 v53, 16, v22
	v_lshrrev_b32_e32 v57, 16, v23
	v_mul_f16_e32 v51, v51, v32
	v_mul_f16_e32 v52, v52, v33
	v_lshrrev_b32_e32 v58, 16, v24
	v_lshrrev_b32_e32 v59, 16, v25
	v_fma_f16 v32, v4, v32, -v54
	v_fma_f16 v33, v5, v33, -v55
	v_fmac_f16_e32 v51, v4, v20
	v_fmac_f16_e32 v52, v5, v21
	v_mul_f16_e32 v4, v49, v57
	v_mul_f16_e32 v5, v49, v23
	;; [unrolled: 1-line block ×3, first 2 shown]
	v_lshrrev_b32_e32 v61, 16, v27
	v_mul_f16_e32 v50, v50, v53
	v_mul_f16_e32 v20, v48, v58
	v_fmac_f16_e32 v4, v7, v23
	v_fma_f16 v5, v7, v57, -v5
	v_mul_f16_e32 v7, v48, v24
	v_mul_f16_e32 v21, v47, v59
	v_lshrrev_b32_e32 v60, 16, v26
	v_fmac_f16_e32 v50, v6, v22
	v_fmac_f16_e32 v20, v0, v24
	v_mul_f16_e32 v22, v47, v25
	v_fma_f16 v0, v0, v58, -v7
	v_fmac_f16_e32 v21, v1, v25
	v_mul_f16_e32 v7, v45, v27
	v_mul_f16_e32 v25, v45, v61
	v_lshrrev_b32_e32 v62, 16, v28
	v_mul_f16_e32 v23, v46, v60
	v_add_f16_e32 v24, v4, v21
	v_fma_f16 v7, v3, v61, -v7
	v_fmac_f16_e32 v25, v3, v27
	v_lshrrev_b32_e32 v31, 16, v19
	v_fma_f16 v1, v1, v59, -v22
	v_fmac_f16_e32 v23, v2, v26
	v_mul_f16_e32 v22, v46, v26
	v_mul_f16_e32 v26, v44, v62
	v_add_f16_e32 v45, v19, v52
	v_fma_f16 v24, -0.5, v24, v19
	v_sub_f16_e32 v46, v33, v7
	v_add_f16_e32 v48, v52, v25
	v_fma_f16 v2, v2, v60, -v22
	v_fmac_f16_e32 v26, v34, v28
	v_add_f16_e32 v3, v45, v4
	v_fmamk_f16 v22, v46, 0xbb9c, v24
	v_sub_f16_e32 v27, v5, v1
	v_sub_f16_e32 v45, v52, v4
	;; [unrolled: 1-line block ×3, first 2 shown]
	v_mul_f16_e32 v28, v44, v28
	v_fmac_f16_e32 v19, -0.5, v48
	v_fmac_f16_e32 v24, 0x3b9c, v46
	v_add_f16_e32 v48, v31, v33
	v_add_f16_e32 v3, v3, v21
	v_fmac_f16_e32 v22, 0xb8b4, v27
	v_add_f16_e32 v44, v45, v47
	v_fma_f16 v28, v34, v62, -v28
	v_fmamk_f16 v34, v27, 0x3b9c, v19
	v_sub_f16_e32 v45, v4, v52
	v_sub_f16_e32 v47, v21, v25
	v_fmac_f16_e32 v24, 0x38b4, v27
	v_add_f16_e32 v49, v5, v1
	v_fmac_f16_e32 v19, 0xbb9c, v27
	v_add_f16_e32 v27, v48, v5
	v_add_f16_e32 v3, v3, v25
	v_fmac_f16_e32 v34, 0xb8b4, v46
	v_add_f16_e32 v45, v45, v47
	v_fma_f16 v47, -0.5, v49, v31
	v_sub_f16_e32 v25, v52, v25
	v_fmac_f16_e32 v19, 0x38b4, v46
	v_add_f16_e32 v27, v27, v1
	v_add_f16_e32 v46, v33, v7
	v_fmac_f16_e32 v22, 0x34f2, v44
	v_fmac_f16_e32 v24, 0x34f2, v44
	v_fmamk_f16 v44, v25, 0x3b9c, v47
	v_sub_f16_e32 v4, v4, v21
	v_sub_f16_e32 v48, v7, v1
	v_fmac_f16_e32 v31, -0.5, v46
	v_add_f16_e32 v27, v27, v7
	v_fmac_f16_e32 v47, 0xbb9c, v25
	v_sub_f16_e32 v1, v1, v7
	v_add_f16_e32 v7, v51, v50
	v_sub_f16_e32 v21, v33, v5
	v_sub_f16_e32 v5, v5, v33
	v_fmac_f16_e32 v34, 0x34f2, v45
	v_fmac_f16_e32 v19, 0x34f2, v45
	;; [unrolled: 1-line block ×3, first 2 shown]
	v_fmamk_f16 v45, v4, 0xbb9c, v31
	v_fmac_f16_e32 v47, 0xb8b4, v4
	v_fmac_f16_e32 v31, 0x3b9c, v4
	v_add_f16_e32 v4, v7, v20
	v_fma_f16 v6, v6, v53, -v56
	v_add_f16_e32 v21, v21, v48
	v_add_f16_e32 v1, v5, v1
	;; [unrolled: 1-line block ×3, first 2 shown]
	v_fmac_f16_e32 v45, 0x38b4, v25
	v_fmac_f16_e32 v31, 0xb8b4, v25
	v_add_f16_e32 v4, v4, v23
	v_add_f16_e32 v7, v50, v26
	v_fmac_f16_e32 v44, 0x34f2, v21
	v_fmac_f16_e32 v47, 0x34f2, v21
	v_fma_f16 v5, -0.5, v5, v51
	v_sub_f16_e32 v21, v6, v28
	v_fmac_f16_e32 v45, 0x34f2, v1
	v_fmac_f16_e32 v31, 0x34f2, v1
	v_add_f16_e32 v1, v4, v26
	v_sub_f16_e32 v4, v0, v2
	v_fmac_f16_e32 v51, -0.5, v7
	v_fmamk_f16 v7, v21, 0xbb9c, v5
	v_sub_f16_e32 v25, v50, v20
	v_sub_f16_e32 v33, v26, v23
	v_fmac_f16_e32 v5, 0x3b9c, v21
	v_fmamk_f16 v46, v4, 0x3b9c, v51
	v_fmac_f16_e32 v51, 0xbb9c, v4
	v_sub_f16_e32 v48, v20, v50
	v_sub_f16_e32 v49, v23, v26
	v_fmac_f16_e32 v7, 0xb8b4, v4
	v_add_f16_e32 v25, v25, v33
	v_fmac_f16_e32 v5, 0x38b4, v4
	v_add_f16_e32 v4, v0, v2
	v_fmac_f16_e32 v46, 0xb8b4, v21
	v_fmac_f16_e32 v51, 0x38b4, v21
	v_add_f16_e32 v21, v6, v28
	v_add_f16_e32 v33, v48, v49
	v_fmac_f16_e32 v7, 0x34f2, v25
	v_fmac_f16_e32 v5, 0x34f2, v25
	v_fma_f16 v4, -0.5, v4, v32
	v_sub_f16_e32 v25, v50, v26
	v_add_f16_e32 v26, v32, v6
	v_sub_f16_e32 v20, v20, v23
	v_fmac_f16_e32 v32, -0.5, v21
	v_fmac_f16_e32 v46, 0x34f2, v33
	v_fmac_f16_e32 v51, 0x34f2, v33
	v_fmamk_f16 v21, v25, 0x3b9c, v4
	v_sub_f16_e32 v23, v6, v0
	v_sub_f16_e32 v33, v28, v2
	v_fmamk_f16 v48, v20, 0xbb9c, v32
	v_sub_f16_e32 v6, v0, v6
	v_sub_f16_e32 v49, v2, v28
	v_fmac_f16_e32 v32, 0x3b9c, v20
	v_fmac_f16_e32 v4, 0xbb9c, v25
	;; [unrolled: 1-line block ×3, first 2 shown]
	v_add_f16_e32 v23, v23, v33
	v_fmac_f16_e32 v48, 0x38b4, v25
	v_add_f16_e32 v6, v6, v49
	v_fmac_f16_e32 v32, 0xb8b4, v25
	v_fmac_f16_e32 v4, 0xb8b4, v20
	v_add_f16_e32 v0, v26, v0
	v_fmac_f16_e32 v21, 0x34f2, v23
	v_fmac_f16_e32 v48, 0x34f2, v6
	v_fmac_f16_e32 v32, 0x34f2, v6
	v_fmac_f16_e32 v4, 0x34f2, v23
	v_add_f16_e32 v0, v0, v2
	v_mul_f16_e32 v2, 0xb8b4, v21
	v_mul_f16_e32 v21, 0x3a79, v21
	;; [unrolled: 1-line block ×8, first 2 shown]
	v_add_f16_e32 v0, v0, v28
	v_fmac_f16_e32 v2, 0x3a79, v7
	v_fmac_f16_e32 v21, 0x38b4, v7
	;; [unrolled: 1-line block ×8, first 2 shown]
	v_add_f16_e32 v25, v3, v1
	v_add_f16_e32 v26, v22, v2
	;; [unrolled: 1-line block ×10, first 2 shown]
	v_sub_f16_e32 v1, v3, v1
	v_sub_f16_e32 v0, v27, v0
	v_sub_f16_e32 v2, v22, v2
	v_sub_f16_e32 v3, v34, v6
	v_sub_f16_e32 v6, v19, v20
	v_sub_f16_e32 v20, v44, v21
	v_sub_f16_e32 v21, v45, v48
	v_sub_f16_e32 v19, v24, v23
	v_sub_f16_e32 v22, v31, v32
	v_sub_f16_e32 v4, v47, v4
	v_pack_b32_f16 v5, v25, v5
	v_pack_b32_f16 v7, v26, v7
	;; [unrolled: 1-line block ×10, first 2 shown]
	ds_store_2addr_b32 v35, v5, v7 offset1:11
	ds_store_2addr_b32 v35, v23, v24 offset0:22 offset1:33
	ds_store_2addr_b32 v35, v25, v0 offset0:44 offset1:55
	;; [unrolled: 1-line block ×4, first 2 shown]
	global_wb scope:SCOPE_SE
	s_wait_dscnt 0x0
	s_barrier_signal -1
	s_barrier_wait -1
	global_inv scope:SCOPE_SE
	ds_load_2addr_b32 v[0:1], v30 offset1:55
	ds_load_2addr_b32 v[2:3], v30 offset0:110 offset1:165
	ds_load_2addr_b32 v[4:5], v18 offset0:92 offset1:147
	;; [unrolled: 1-line block ×4, first 2 shown]
	s_wait_dscnt 0x4
	v_lshrrev_b32_e32 v21, 16, v0
	s_wait_dscnt 0x3
	v_lshrrev_b32_e32 v22, 16, v2
	;; [unrolled: 2-line block ×5, first 2 shown]
	v_mul_f16_e32 v31, v43, v2
	v_mul_f16_e32 v28, v43, v22
	v_lshrrev_b32_e32 v27, 16, v3
	v_mul_f16_e32 v35, v41, v6
	v_lshrrev_b32_e32 v32, 16, v5
	v_lshrrev_b32_e32 v33, 16, v7
	v_fmac_f16_e32 v28, v12, v2
	v_fma_f16 v2, v12, v22, -v31
	v_mul_f16_e32 v12, v42, v23
	v_mul_f16_e32 v22, v42, v4
	;; [unrolled: 1-line block ×4, first 2 shown]
	v_lshrrev_b32_e32 v34, 16, v20
	v_fmac_f16_e32 v12, v13, v4
	v_fma_f16 v4, v13, v23, -v22
	v_fmac_f16_e32 v31, v14, v6
	v_fma_f16 v6, v14, v24, -v35
	v_fmac_f16_e32 v41, v15, v19
	v_mul_f16_e32 v13, v40, v19
	v_mul_f16_e32 v14, v39, v27
	;; [unrolled: 1-line block ×5, first 2 shown]
	v_fma_f16 v13, v15, v25, -v13
	v_fmac_f16_e32 v14, v8, v3
	v_fma_f16 v3, v8, v27, -v19
	v_add_f16_e32 v8, v12, v31
	v_fmac_f16_e32 v22, v9, v5
	v_fma_f16 v5, v9, v32, -v23
	v_mul_f16_e32 v9, v37, v33
	v_mul_f16_e32 v15, v37, v7
	;; [unrolled: 1-line block ×3, first 2 shown]
	v_add_f16_e32 v23, v0, v28
	v_fma_f16 v8, -0.5, v8, v0
	v_sub_f16_e32 v24, v2, v13
	v_fmac_f16_e32 v9, v10, v7
	v_fma_f16 v7, v10, v33, -v15
	v_fmac_f16_e32 v19, v11, v20
	v_add_f16_e32 v10, v23, v12
	v_fmamk_f16 v15, v24, 0xbb9c, v8
	v_sub_f16_e32 v23, v4, v6
	v_sub_f16_e32 v25, v28, v12
	;; [unrolled: 1-line block ×3, first 2 shown]
	v_add_f16_e32 v32, v28, v41
	v_mul_f16_e32 v20, v36, v20
	v_fmac_f16_e32 v8, 0x3b9c, v24
	v_fmac_f16_e32 v15, 0xb8b4, v23
	v_add_f16_e32 v25, v25, v27
	v_fma_f16 v0, -0.5, v32, v0
	v_fma_f16 v11, v11, v34, -v20
	v_sub_f16_e32 v27, v12, v28
	v_sub_f16_e32 v32, v31, v41
	v_fmac_f16_e32 v8, 0x38b4, v23
	v_add_f16_e32 v33, v21, v2
	v_add_f16_e32 v34, v4, v6
	v_fmac_f16_e32 v15, 0x34f2, v25
	v_fmamk_f16 v20, v23, 0x3b9c, v0
	v_add_f16_e32 v27, v27, v32
	v_fmac_f16_e32 v0, 0xbb9c, v23
	v_add_f16_e32 v23, v33, v4
	v_fma_f16 v32, -0.5, v34, v21
	v_sub_f16_e32 v28, v28, v41
	v_fmac_f16_e32 v8, 0x34f2, v25
	v_add_f16_e32 v25, v2, v13
	v_add_f16_e32 v10, v10, v31
	v_fmac_f16_e32 v20, 0xb8b4, v24
	v_fmac_f16_e32 v0, 0x38b4, v24
	v_add_f16_e32 v23, v23, v6
	v_fmamk_f16 v24, v28, 0x3b9c, v32
	v_sub_f16_e32 v12, v12, v31
	v_sub_f16_e32 v31, v2, v4
	;; [unrolled: 1-line block ×3, first 2 shown]
	v_fmac_f16_e32 v21, -0.5, v25
	v_fmac_f16_e32 v32, 0xbb9c, v28
	v_sub_f16_e32 v2, v4, v2
	v_sub_f16_e32 v4, v6, v13
	v_add_f16_e32 v6, v22, v9
	v_fmac_f16_e32 v20, 0x34f2, v27
	v_fmac_f16_e32 v0, 0x34f2, v27
	;; [unrolled: 1-line block ×3, first 2 shown]
	v_add_f16_e32 v25, v31, v33
	v_fmamk_f16 v27, v12, 0xbb9c, v21
	v_fmac_f16_e32 v32, 0xb8b4, v12
	v_add_f16_e32 v2, v2, v4
	v_fmac_f16_e32 v21, 0x3b9c, v12
	v_add_f16_e32 v4, v1, v14
	v_fma_f16 v6, -0.5, v6, v1
	v_sub_f16_e32 v12, v3, v11
	v_add_f16_e32 v23, v23, v13
	v_fmac_f16_e32 v24, 0x34f2, v25
	v_fmac_f16_e32 v27, 0x38b4, v28
	;; [unrolled: 1-line block ×4, first 2 shown]
	v_add_f16_e32 v4, v4, v22
	v_fmamk_f16 v13, v12, 0xbb9c, v6
	v_sub_f16_e32 v25, v5, v7
	v_sub_f16_e32 v28, v14, v22
	;; [unrolled: 1-line block ×3, first 2 shown]
	v_fmac_f16_e32 v6, 0x3b9c, v12
	v_add_f16_e32 v33, v14, v19
	v_lshrrev_b32_e32 v26, 16, v1
	v_add_f16_e32 v4, v4, v9
	v_fmac_f16_e32 v13, 0xb8b4, v25
	v_add_f16_e32 v28, v28, v31
	v_fmac_f16_e32 v6, 0x38b4, v25
	v_fmac_f16_e32 v1, -0.5, v33
	v_sub_f16_e32 v31, v22, v14
	v_sub_f16_e32 v33, v9, v19
	v_fmac_f16_e32 v27, 0x34f2, v2
	v_fmac_f16_e32 v21, 0x34f2, v2
	v_add_f16_e32 v2, v4, v19
	v_fmac_f16_e32 v13, 0x34f2, v28
	v_fmac_f16_e32 v6, 0x34f2, v28
	v_fmamk_f16 v4, v25, 0x3b9c, v1
	v_add_f16_e32 v28, v5, v7
	v_fmac_f16_e32 v1, 0xbb9c, v25
	v_sub_f16_e32 v14, v14, v19
	v_add_f16_e32 v19, v31, v33
	v_add_f16_e32 v31, v3, v11
	;; [unrolled: 1-line block ×3, first 2 shown]
	v_fma_f16 v28, -0.5, v28, v26
	v_fmac_f16_e32 v4, 0xb8b4, v12
	v_fmac_f16_e32 v1, 0x38b4, v12
	v_sub_f16_e32 v9, v22, v9
	v_fmac_f16_e32 v26, -0.5, v31
	v_add_f16_e32 v12, v25, v5
	v_fmamk_f16 v25, v14, 0x3b9c, v28
	v_fmac_f16_e32 v4, 0x34f2, v19
	v_fmac_f16_e32 v1, 0x34f2, v19
	v_sub_f16_e32 v19, v3, v5
	v_sub_f16_e32 v22, v11, v7
	v_fmamk_f16 v31, v9, 0xbb9c, v26
	v_sub_f16_e32 v3, v5, v3
	v_sub_f16_e32 v5, v7, v11
	v_fmac_f16_e32 v26, 0x3b9c, v9
	v_fmac_f16_e32 v28, 0xbb9c, v14
	v_add_f16_e32 v12, v12, v7
	v_fmac_f16_e32 v25, 0x38b4, v9
	v_add_f16_e32 v7, v19, v22
	;; [unrolled: 2-line block ×3, first 2 shown]
	v_fmac_f16_e32 v26, 0xb8b4, v14
	v_fmac_f16_e32 v28, 0xb8b4, v9
	v_add_f16_e32 v10, v10, v41
	v_add_f16_e32 v5, v12, v11
	v_fmac_f16_e32 v25, 0x34f2, v7
	v_fmac_f16_e32 v31, 0x34f2, v3
	;; [unrolled: 1-line block ×4, first 2 shown]
	v_pack_b32_f16 v3, v10, v23
	v_pack_b32_f16 v2, v2, v5
	;; [unrolled: 1-line block ×10, first 2 shown]
	ds_store_2addr_b32 v30, v3, v2 offset1:55
	ds_store_2addr_b32 v30, v7, v5 offset0:110 offset1:165
	ds_store_2addr_b32 v18, v9, v4 offset0:92 offset1:147
	;; [unrolled: 1-line block ×4, first 2 shown]
	global_wb scope:SCOPE_SE
	s_wait_dscnt 0x0
	s_barrier_signal -1
	s_barrier_wait -1
	global_inv scope:SCOPE_SE
	s_and_b32 exec_lo, exec_lo, vcc_lo
	s_cbranch_execz .LBB0_15
; %bb.14:
	s_clause 0x6
	global_load_b32 v0, v30, s[12:13]
	global_load_b32 v1, v30, s[12:13] offset:200
	global_load_b32 v6, v30, s[12:13] offset:400
	;; [unrolled: 1-line block ×6, first 2 shown]
	ds_load_2addr_b32 v[11:12], v30 offset0:50 offset1:100
	ds_load_b32 v25, v30
	v_mad_co_u64_u32 v[9:10], null, s2, v16, 0
	v_mad_co_u64_u32 v[13:14], null, s0, v29, 0
	ds_load_2addr_b32 v[19:20], v30 offset0:150 offset1:200
	ds_load_2addr_b32 v[21:22], v18 offset0:122 offset1:172
	s_clause 0x3
	global_load_b32 v4, v30, s[12:13] offset:1400
	global_load_b32 v2, v30, s[12:13] offset:1600
	;; [unrolled: 1-line block ×4, first 2 shown]
	s_mov_b32 s22, 0xdca01dca
	s_mov_b32 s23, 0x3f5dca01
	s_mul_u64 s[20:21], s[0:1], 0xc8
	s_wait_dscnt 0x3
	v_mad_co_u64_u32 v[15:16], null, s3, v16, v[10:11]
	s_wait_dscnt 0x2
	v_lshrrev_b32_e32 v16, 16, v25
	v_lshrrev_b32_e32 v18, 16, v11
	s_wait_dscnt 0x1
	v_lshrrev_b32_e32 v26, 16, v19
	v_lshrrev_b32_e32 v28, 16, v20
	s_wait_dscnt 0x0
	v_lshrrev_b32_e32 v38, 16, v22
	v_mad_co_u64_u32 v[23:24], null, s1, v29, v[14:15]
	v_mov_b32_e32 v10, v15
	v_lshrrev_b32_e32 v24, 16, v12
	v_lshrrev_b32_e32 v29, 16, v21
	s_delay_alu instid0(VALU_DEP_4) | instskip(NEXT) | instid1(VALU_DEP_1)
	v_mov_b32_e32 v14, v23
	v_lshlrev_b64_e32 v[13:14], 2, v[13:14]
	s_wait_loadcnt 0xa
	v_lshrrev_b32_e32 v15, 16, v0
	s_wait_loadcnt 0x9
	v_lshrrev_b32_e32 v23, 16, v1
	;; [unrolled: 2-line block ×5, first 2 shown]
	v_mul_f16_e32 v34, v16, v15
	v_mul_f16_e32 v15, v25, v15
	v_mul_f16_e32 v35, v18, v23
	v_mul_f16_e32 v23, v11, v23
	v_mul_f16_e32 v36, v24, v30
	v_fmac_f16_e32 v34, v25, v0
	v_fma_f16 v0, v0, v16, -v15
	v_fmac_f16_e32 v35, v11, v1
	v_fma_f16 v18, v1, v18, -v23
	v_mul_f16_e32 v25, v12, v30
	v_cvt_f32_f16_e32 v15, v34
	v_cvt_f32_f16_e32 v11, v0
	;; [unrolled: 1-line block ×3, first 2 shown]
	v_mul_f16_e32 v30, v26, v31
	v_fmac_f16_e32 v36, v12, v6
	v_cvt_f64_f32_e32 v[0:1], v15
	v_cvt_f64_f32_e32 v[15:16], v11
	v_cvt_f32_f16_e32 v18, v18
	v_cvt_f64_f32_e32 v[11:12], v23
	v_mul_f16_e32 v31, v19, v31
	v_cvt_f32_f16_e32 v23, v36
	v_fma_f16 v6, v6, v24, -v25
	v_fmac_f16_e32 v30, v19, v7
	v_cvt_f64_f32_e32 v[18:19], v18
	s_wait_loadcnt 0x5
	v_lshrrev_b32_e32 v33, 16, v27
	v_cvt_f64_f32_e32 v[23:24], v23
	v_cvt_f32_f16_e32 v6, v6
	v_mul_f16_e32 v34, v28, v32
	v_cvt_f32_f16_e32 v25, v30
	v_fma_f16 v30, v7, v26, -v31
	v_mul_f16_e32 v32, v20, v32
	v_cvt_f64_f32_e32 v[6:7], v6
	v_mul_f16_e32 v35, v29, v33
	v_mul_f16_e32 v33, v21, v33
	v_fmac_f16_e32 v34, v20, v8
	v_cvt_f64_f32_e32 v[25:26], v25
	v_cvt_f32_f16_e32 v20, v30
	v_fma_f16 v8, v8, v28, -v32
	v_fmac_f16_e32 v35, v21, v27
	v_fma_f16 v27, v27, v29, -v33
	v_cvt_f32_f16_e32 v28, v34
	v_cvt_f64_f32_e32 v[20:21], v20
	v_cvt_f32_f16_e32 v29, v8
	v_lshlrev_b64_e32 v[8:9], 2, v[9:10]
	v_cvt_f32_f16_e32 v33, v27
	v_cvt_f64_f32_e32 v[27:28], v28
	s_wait_loadcnt 0x4
	v_lshrrev_b32_e32 v39, 16, v37
	v_cvt_f64_f32_e32 v[29:30], v29
	v_cvt_f32_f16_e32 v31, v35
	v_add_co_u32 v10, vcc_lo, s8, v8
	v_add_co_ci_u32_e32 v40, vcc_lo, s9, v9, vcc_lo
	v_mul_f64_e32 v[0:1], s[22:23], v[0:1]
	v_mul_f64_e32 v[15:16], s[22:23], v[15:16]
	s_delay_alu instid0(VALU_DEP_4)
	v_add_co_u32 v10, vcc_lo, v10, v13
	v_mul_f64_e32 v[8:9], s[22:23], v[11:12]
	v_mul_f16_e32 v36, v38, v39
	s_wait_alu 0xfffd
	v_add_co_ci_u32_e32 v11, vcc_lo, v40, v14, vcc_lo
	v_mul_f64_e32 v[12:13], s[22:23], v[18:19]
	v_mul_f16_e32 v14, v22, v39
	v_mul_f64_e32 v[18:19], s[22:23], v[23:24]
	v_fmac_f16_e32 v36, v22, v37
	v_add_co_u32 v22, vcc_lo, v10, s20
	v_cvt_f64_f32_e32 v[31:32], v31
	s_wait_alu 0xfffd
	v_add_co_ci_u32_e32 v23, vcc_lo, s21, v11, vcc_lo
	v_mul_f64_e32 v[6:7], s[22:23], v[6:7]
	v_fma_f16 v14, v37, v38, -v14
	v_add_co_u32 v37, vcc_lo, v22, s20
	v_mul_f64_e32 v[24:25], s[22:23], v[25:26]
	s_wait_alu 0xfffd
	v_add_co_ci_u32_e32 v38, vcc_lo, s21, v23, vcc_lo
	s_delay_alu instid0(VALU_DEP_3) | instskip(SKIP_2) | instid1(VALU_DEP_3)
	v_add_co_u32 v39, vcc_lo, v37, s20
	v_mul_f64_e32 v[20:21], s[22:23], v[20:21]
	s_wait_alu 0xfffd
	v_add_co_ci_u32_e32 v40, vcc_lo, s21, v38, vcc_lo
	v_cvt_f64_f32_e32 v[33:34], v33
	v_mul_f64_e32 v[26:27], s[22:23], v[27:28]
	v_cvt_f32_f16_e32 v35, v36
	v_mul_f64_e32 v[28:29], s[22:23], v[29:30]
	v_cvt_f32_f16_e32 v14, v14
	s_delay_alu instid0(VALU_DEP_3) | instskip(NEXT) | instid1(VALU_DEP_2)
	v_cvt_f64_f32_e32 v[35:36], v35
	v_cvt_f64_f32_e32 v[41:42], v14
	v_and_or_b32 v0, 0x1ff, v1, v0
	v_and_or_b32 v15, 0x1ff, v16, v15
	v_lshrrev_b32_e32 v14, 8, v1
	v_and_or_b32 v8, 0x1ff, v9, v8
	v_lshrrev_b32_e32 v45, 8, v9
	v_cmp_ne_u32_e32 vcc_lo, 0, v0
	v_bfe_u32 v46, v9, 20, 11
	v_and_or_b32 v12, 0x1ff, v13, v12
	v_lshrrev_b32_e32 v47, 8, v13
	v_and_or_b32 v18, 0x1ff, v19, v18
	s_wait_alu 0xfffd
	v_cndmask_b32_e64 v0, 0, 1, vcc_lo
	v_cmp_ne_u32_e32 vcc_lo, 0, v15
	v_lshrrev_b32_e32 v49, 8, v19
	v_mul_f64_e32 v[30:31], s[22:23], v[31:32]
	v_bfe_u32 v50, v19, 20, 11
	v_bfe_u32 v48, v13, 20, 11
	s_wait_alu 0xfffd
	v_cndmask_b32_e64 v15, 0, 1, vcc_lo
	v_cmp_ne_u32_e32 vcc_lo, 0, v8
	v_and_or_b32 v6, 0x1ff, v7, v6
	v_lshrrev_b32_e32 v51, 8, v7
	v_and_or_b32 v24, 0x1ff, v25, v24
	v_lshrrev_b32_e32 v53, 8, v25
	s_wait_alu 0xfffd
	v_cndmask_b32_e64 v8, 0, 1, vcc_lo
	v_cmp_ne_u32_e32 vcc_lo, 0, v12
	v_bfe_u32 v54, v25, 20, 11
	v_and_or_b32 v20, 0x1ff, v21, v20
	v_lshrrev_b32_e32 v55, 8, v21
	v_bfe_u32 v56, v21, 20, 11
	s_wait_alu 0xfffd
	v_cndmask_b32_e64 v12, 0, 1, vcc_lo
	v_cmp_ne_u32_e32 vcc_lo, 0, v18
	v_and_or_b32 v26, 0x1ff, v27, v26
	v_and_or_b32 v28, 0x1ff, v29, v28
	v_lshrrev_b32_e32 v59, 8, v29
	v_bfe_u32 v60, v29, 20, 11
	s_wait_alu 0xfffd
	v_cndmask_b32_e64 v18, 0, 1, vcc_lo
	v_cmp_ne_u32_e32 vcc_lo, 0, v6
	v_mul_f64_e32 v[32:33], s[22:23], v[33:34]
	v_lshrrev_b32_e32 v57, 8, v27
	v_bfe_u32 v58, v27, 20, 11
	v_sub_nc_u32_e32 v74, 0x3f1, v60
	s_wait_alu 0xfffd
	v_cndmask_b32_e64 v6, 0, 1, vcc_lo
	v_cmp_ne_u32_e32 vcc_lo, 0, v24
	v_add_nc_u32_e32 v60, 0xfffffc10, v60
	v_sub_nc_u32_e32 v73, 0x3f1, v58
	v_sub_nc_u32_e32 v72, 0x3f1, v56
	v_bfe_u32 v52, v7, 20, 11
	s_wait_alu 0xfffd
	v_cndmask_b32_e64 v24, 0, 1, vcc_lo
	v_cmp_ne_u32_e32 vcc_lo, 0, v20
	v_sub_nc_u32_e32 v71, 0x3f1, v54
	v_and_or_b32 v6, 0xffe, v51, v6
	v_sub_nc_u32_e32 v70, 0x3f1, v52
	v_and_or_b32 v30, 0x1ff, v31, v30
	s_wait_alu 0xfffd
	v_cndmask_b32_e64 v20, 0, 1, vcc_lo
	v_cmp_ne_u32_e32 vcc_lo, 0, v26
	v_bfe_u32 v62, v31, 20, 11
	v_and_or_b32 v24, 0xffe, v53, v24
	v_lshrrev_b32_e32 v61, 8, v31
	v_and_or_b32 v20, 0xffe, v55, v20
	s_wait_alu 0xfffd
	v_cndmask_b32_e64 v26, 0, 1, vcc_lo
	v_cmp_ne_u32_e32 vcc_lo, 0, v28
	v_sub_nc_u32_e32 v75, 0x3f1, v62
	v_sub_nc_u32_e32 v69, 0x3f1, v50
	v_and_or_b32 v18, 0xffe, v49, v18
	v_and_or_b32 v26, 0xffe, v57, v26
	s_wait_alu 0xfffd
	v_cndmask_b32_e64 v28, 0, 1, vcc_lo
	v_cmp_ne_u32_e32 vcc_lo, 0, v30
	v_sub_nc_u32_e32 v68, 0x3f1, v48
	v_and_or_b32 v12, 0xffe, v47, v12
	v_med3_i32 v57, v73, 0, 13
	v_and_or_b32 v28, 0xffe, v59, v28
	s_wait_alu 0xfffd
	v_cndmask_b32_e64 v30, 0, 1, vcc_lo
	v_lshrrev_b32_e32 v43, 8, v16
	v_bfe_u32 v44, v16, 20, 11
	v_sub_nc_u32_e32 v67, 0x3f1, v46
	v_lshl_or_b32 v84, v60, 12, v28
	v_add_nc_u32_e32 v58, 0xfffffc10, v58
	v_and_or_b32 v30, 0xffe, v61, v30
	v_med3_i32 v61, v75, 0, 13
	v_and_or_b32 v32, 0x1ff, v33, v32
	v_and_or_b32 v8, 0xffe, v45, v8
	v_lshl_or_b32 v82, v58, 12, v26
	v_add_nc_u32_e32 v56, 0xfffffc10, v56
	v_med3_i32 v53, v71, 0, 13
	v_mul_f64_e32 v[34:35], s[22:23], v[35:36]
	v_bfe_u32 v36, v1, 20, 11
	v_sub_nc_u32_e32 v66, 0x3f1, v44
	v_lshl_or_b32 v80, v56, 12, v20
	v_add_nc_u32_e32 v54, 0xfffffc10, v54
	v_cmp_ne_u32_e32 vcc_lo, 0, v32
	v_and_or_b32 v0, 0xffe, v14, v0
	v_and_or_b32 v15, 0xffe, v43, v15
	v_med3_i32 v49, v69, 0, 13
	v_lshl_or_b32 v78, v54, 12, v24
	v_add_nc_u32_e32 v52, 0xfffffc10, v52
	v_lshrrev_b32_e32 v63, 8, v33
	v_sub_nc_u32_e32 v65, 0x3f1, v36
	s_wait_alu 0xfffd
	v_cndmask_b32_e64 v32, 0, 1, vcc_lo
	v_med3_i32 v45, v67, 0, 13
	v_lshl_or_b32 v75, v52, 12, v6
	v_add_nc_u32_e32 v50, 0xfffffc10, v50
	v_cmp_ne_u32_e32 vcc_lo, 0, v0
	v_med3_i32 v14, v65, 0, 13
	v_and_or_b32 v32, 0xffe, v63, v32
	v_or_b32_e32 v63, 0x1000, v0
	v_lshl_or_b32 v73, v50, 12, v18
	v_add_nc_u32_e32 v48, 0xfffffc10, v48
	v_med3_i32 v43, v66, 0, 13
	v_or_b32_e32 v66, 0x1000, v15
	v_med3_i32 v47, v68, 0, 13
	v_or_b32_e32 v68, 0x1000, v8
	v_lshl_or_b32 v71, v48, 12, v12
	v_add_nc_u32_e32 v46, 0xfffffc10, v46
	v_med3_i32 v51, v70, 0, 13
	v_or_b32_e32 v70, 0x1000, v12
	v_med3_i32 v55, v72, 0, 13
	v_or_b32_e32 v72, 0x1000, v18
	v_lshl_or_b32 v69, v46, 12, v8
	v_add_nc_u32_e32 v44, 0xfffffc10, v44
	v_med3_i32 v59, v74, 0, 13
	v_or_b32_e32 v74, 0x1000, v6
	v_or_b32_e32 v77, 0x1000, v24
	;; [unrolled: 1-line block ×3, first 2 shown]
	v_lshl_or_b32 v67, v44, 12, v15
	v_add_nc_u32_e32 v36, 0xfffffc10, v36
	v_lshrrev_b32_e32 v88, v14, v63
	v_or_b32_e32 v81, 0x1000, v26
	v_or_b32_e32 v83, 0x1000, v28
	v_lshrrev_b32_e32 v89, v43, v66
	v_lshl_or_b32 v65, v36, 12, v0
	s_wait_alu 0xfffd
	v_cndmask_b32_e64 v0, 0, 1, vcc_lo
	v_cmp_ne_u32_e32 vcc_lo, 0, v15
	v_lshlrev_b32_e32 v14, v14, v88
	v_lshrrev_b32_e32 v90, v45, v68
	v_lshrrev_b32_e32 v91, v47, v70
	;; [unrolled: 1-line block ×3, first 2 shown]
	s_wait_alu 0xfffd
	v_cndmask_b32_e64 v15, 0, 1, vcc_lo
	v_cmp_ne_u32_e32 vcc_lo, 0, v8
	v_lshlrev_b32_e32 v45, v45, v90
	v_lshlrev_b32_e32 v47, v47, v91
	v_lshrrev_b32_e32 v93, v51, v74
	v_lshlrev_b32_e32 v49, v49, v92
	s_wait_alu 0xfffd
	v_cndmask_b32_e64 v8, 0, 1, vcc_lo
	v_cmp_ne_u32_e32 vcc_lo, 0, v12
	v_lshl_or_b32 v0, v0, 9, 0x7c00
	v_lshrrev_b32_e32 v94, v53, v77
	v_lshlrev_b32_e32 v51, v51, v93
	v_lshl_or_b32 v15, v15, 9, 0x7c00
	s_wait_alu 0xfffd
	v_cndmask_b32_e64 v12, 0, 1, vcc_lo
	v_cmp_ne_u32_e32 vcc_lo, 0, v18
	v_lshrrev_b32_e32 v95, v55, v79
	v_lshlrev_b32_e32 v53, v53, v94
	v_lshl_or_b32 v8, v8, 9, 0x7c00
	v_lshrrev_b32_e32 v96, v57, v81
	s_wait_alu 0xfffd
	v_cndmask_b32_e64 v18, 0, 1, vcc_lo
	v_cmp_ne_u32_e32 vcc_lo, 0, v6
	v_lshlrev_b32_e32 v55, v55, v95
	v_or_b32_e32 v85, 0x1000, v30
	v_lshrrev_b32_e32 v97, v59, v83
	v_lshl_or_b32 v12, v12, 9, 0x7c00
	s_wait_alu 0xfffd
	v_cndmask_b32_e64 v6, 0, 1, vcc_lo
	v_cmp_ne_u32_e32 vcc_lo, 0, v24
	v_lshrrev_b32_e32 v98, v61, v85
	v_lshl_or_b32 v18, v18, 9, 0x7c00
	v_lshrrev_b32_e32 v1, 16, v1
	v_lshl_or_b32 v6, v6, 9, 0x7c00
	s_wait_alu 0xfffd
	v_cndmask_b32_e64 v24, 0, 1, vcc_lo
	v_cmp_ne_u32_e32 vcc_lo, 0, v20
	v_lshlrev_b32_e32 v57, v57, v96
	v_lshlrev_b32_e32 v61, v61, v98
	v_lshrrev_b32_e32 v9, 16, v9
	v_lshl_or_b32 v24, v24, 9, 0x7c00
	s_wait_alu 0xfffd
	v_cndmask_b32_e64 v20, 0, 1, vcc_lo
	v_cmp_ne_u32_e32 vcc_lo, 0, v26
	v_lshlrev_b32_e32 v59, v59, v97
	v_lshrrev_b32_e32 v13, 16, v13
	v_lshrrev_b32_e32 v19, 16, v19
	v_lshl_or_b32 v20, v20, 9, 0x7c00
	s_wait_alu 0xfffd
	v_cndmask_b32_e64 v26, 0, 1, vcc_lo
	v_cmp_ne_u32_e32 vcc_lo, 0, v28
	v_lshrrev_b32_e32 v16, 16, v16
	v_lshrrev_b32_e32 v7, 16, v7
	v_bfe_u32 v64, v33, 20, 11
	v_lshl_or_b32 v26, v26, 9, 0x7c00
	s_wait_alu 0xfffd
	v_cndmask_b32_e64 v28, 0, 1, vcc_lo
	v_cmp_ne_u32_e32 vcc_lo, v14, v63
	v_lshrrev_b32_e32 v25, 16, v25
	v_sub_nc_u32_e32 v76, 0x3f1, v64
	v_lshrrev_b32_e32 v21, 16, v21
	v_or_b32_e32 v87, 0x1000, v32
	s_wait_alu 0xfffd
	v_cndmask_b32_e64 v14, 0, 1, vcc_lo
	v_lshrrev_b32_e32 v27, 16, v27
	s_delay_alu instid0(VALU_DEP_2) | instskip(SKIP_1) | instid1(VALU_DEP_1)
	v_or_b32_e32 v14, v88, v14
	v_lshlrev_b32_e32 v43, v43, v89
	v_cmp_ne_u32_e32 vcc_lo, v43, v66
	s_wait_alu 0xfffd
	v_cndmask_b32_e64 v43, 0, 1, vcc_lo
	v_cmp_ne_u32_e32 vcc_lo, v45, v68
	s_delay_alu instid0(VALU_DEP_2) | instskip(SKIP_3) | instid1(VALU_DEP_2)
	v_or_b32_e32 v43, v89, v43
	s_wait_alu 0xfffd
	v_cndmask_b32_e64 v45, 0, 1, vcc_lo
	v_cmp_ne_u32_e32 vcc_lo, v47, v70
	v_or_b32_e32 v45, v90, v45
	s_wait_alu 0xfffd
	v_cndmask_b32_e64 v47, 0, 1, vcc_lo
	v_cmp_ne_u32_e32 vcc_lo, v49, v72
	s_delay_alu instid0(VALU_DEP_2) | instskip(SKIP_3) | instid1(VALU_DEP_2)
	v_or_b32_e32 v47, v91, v47
	s_wait_alu 0xfffd
	v_cndmask_b32_e64 v49, 0, 1, vcc_lo
	v_cmp_ne_u32_e32 vcc_lo, v51, v74
	v_or_b32_e32 v49, v92, v49
	s_wait_alu 0xfffd
	v_cndmask_b32_e64 v51, 0, 1, vcc_lo
	v_cmp_ne_u32_e32 vcc_lo, v53, v77
	s_delay_alu instid0(VALU_DEP_2) | instskip(SKIP_3) | instid1(VALU_DEP_2)
	v_or_b32_e32 v51, v93, v51
	s_wait_alu 0xfffd
	v_cndmask_b32_e64 v53, 0, 1, vcc_lo
	v_cmp_ne_u32_e32 vcc_lo, v55, v79
	v_or_b32_e32 v53, v94, v53
	s_wait_alu 0xfffd
	v_cndmask_b32_e64 v55, 0, 1, vcc_lo
	v_cmp_ne_u32_e32 vcc_lo, v57, v81
	s_delay_alu instid0(VALU_DEP_2) | instskip(SKIP_3) | instid1(VALU_DEP_2)
	v_or_b32_e32 v55, v95, v55
	s_wait_alu 0xfffd
	v_cndmask_b32_e64 v57, 0, 1, vcc_lo
	v_cmp_ne_u32_e32 vcc_lo, v59, v83
	v_or_b32_e32 v57, v96, v57
	s_wait_alu 0xfffd
	v_cndmask_b32_e64 v59, 0, 1, vcc_lo
	v_cmp_ne_u32_e32 vcc_lo, v61, v85
	s_delay_alu instid0(VALU_DEP_2) | instskip(SKIP_3) | instid1(VALU_DEP_2)
	v_or_b32_e32 v59, v97, v59
	s_wait_alu 0xfffd
	v_cndmask_b32_e64 v61, 0, 1, vcc_lo
	v_cmp_gt_i32_e32 vcc_lo, 1, v36
	v_or_b32_e32 v61, v98, v61
	s_wait_alu 0xfffd
	v_cndmask_b32_e32 v14, v65, v14, vcc_lo
	v_cmp_gt_i32_e32 vcc_lo, 1, v44
	v_add_nc_u32_e32 v62, 0xfffffc10, v62
	s_delay_alu instid0(VALU_DEP_3)
	v_and_b32_e32 v63, 7, v14
	s_wait_alu 0xfffd
	v_cndmask_b32_e32 v43, v67, v43, vcc_lo
	v_cmp_gt_i32_e32 vcc_lo, 1, v46
	v_lshrrev_b32_e32 v14, 2, v14
	v_lshl_or_b32 v86, v62, 12, v30
	v_cmp_eq_u32_e64 s0, 3, v63
	v_and_b32_e32 v65, 7, v43
	s_wait_alu 0xfffd
	v_cndmask_b32_e32 v45, v69, v45, vcc_lo
	v_cmp_gt_i32_e32 vcc_lo, 1, v48
	v_lshrrev_b32_e32 v43, 2, v43
	v_cmp_lt_i32_e64 s1, 5, v65
	s_wait_alu 0xfffd
	v_dual_cndmask_b32 v47, v71, v47 :: v_dual_and_b32 v66, 7, v45
	v_cmp_gt_i32_e32 vcc_lo, 1, v50
	v_cmp_eq_u32_e64 s2, 3, v65
	v_lshrrev_b32_e32 v45, 2, v45
	s_delay_alu instid0(VALU_DEP_4)
	v_cmp_lt_i32_e64 s3, 5, v66
	v_and_b32_e32 v67, 7, v47
	s_wait_alu 0xfffd
	v_cndmask_b32_e32 v49, v73, v49, vcc_lo
	v_cmp_gt_i32_e32 vcc_lo, 1, v52
	v_cmp_eq_u32_e64 s4, 3, v66
	v_lshrrev_b32_e32 v47, 2, v47
	v_cmp_lt_i32_e64 s5, 5, v67
	s_wait_alu 0xfffd
	v_dual_cndmask_b32 v51, v75, v51 :: v_dual_and_b32 v68, 7, v49
	v_cmp_gt_i32_e32 vcc_lo, 1, v54
	v_cmp_eq_u32_e64 s6, 3, v67
	v_lshrrev_b32_e32 v49, 2, v49
	s_delay_alu instid0(VALU_DEP_4)
	v_cmp_lt_i32_e64 s7, 5, v68
	v_and_b32_e32 v69, 7, v51
	s_wait_alu 0xfffd
	v_cndmask_b32_e32 v53, v78, v53, vcc_lo
	v_cmp_gt_i32_e32 vcc_lo, 1, v56
	v_cmp_eq_u32_e64 s8, 3, v68
	;; [unrolled: 14-line block ×3, first 2 shown]
	v_lshrrev_b32_e32 v55, 2, v55
	v_cmp_lt_i32_e64 s13, 5, v71
	s_wait_alu 0xfffd
	v_dual_cndmask_b32 v59, v84, v59 :: v_dual_and_b32 v72, 7, v57
	v_cmp_lt_i32_e32 vcc_lo, 5, v63
	v_cmp_eq_u32_e64 s14, 3, v71
	v_lshrrev_b32_e32 v57, 2, v57
	s_delay_alu instid0(VALU_DEP_4)
	v_cmp_lt_i32_e64 s15, 5, v72
	v_and_b32_e32 v73, 7, v59
	s_or_b32 vcc_lo, s0, vcc_lo
	v_cmp_eq_u32_e64 s16, 3, v72
	s_wait_alu 0xfffe
	v_add_co_ci_u32_e32 v14, vcc_lo, 0, v14, vcc_lo
	s_or_b32 vcc_lo, s2, s1
	v_cmp_lt_i32_e64 s17, 5, v73
	s_wait_alu 0xfffe
	v_add_co_ci_u32_e32 v43, vcc_lo, 0, v43, vcc_lo
	s_or_b32 vcc_lo, s4, s3
	v_cmp_eq_u32_e64 s18, 3, v73
	s_wait_alu 0xfffe
	v_add_co_ci_u32_e32 v45, vcc_lo, 0, v45, vcc_lo
	s_or_b32 vcc_lo, s6, s5
	v_lshrrev_b32_e32 v59, 2, v59
	s_wait_alu 0xfffe
	v_add_co_ci_u32_e32 v47, vcc_lo, 0, v47, vcc_lo
	s_or_b32 vcc_lo, s8, s7
	s_wait_alu 0xfffe
	v_add_co_ci_u32_e32 v49, vcc_lo, 0, v49, vcc_lo
	s_or_b32 vcc_lo, s10, s9
	;; [unrolled: 3-line block ×6, first 2 shown]
	s_wait_alu 0xfffe
	v_add_co_ci_u32_e32 v59, vcc_lo, 0, v59, vcc_lo
	v_cmp_gt_i32_e32 vcc_lo, 31, v36
	s_wait_alu 0xfffd
	v_cndmask_b32_e32 v14, 0x7c00, v14, vcc_lo
	v_cmp_gt_i32_e32 vcc_lo, 31, v44
	s_wait_alu 0xfffd
	v_cndmask_b32_e32 v43, 0x7c00, v43, vcc_lo
	;; [unrolled: 3-line block ×9, first 2 shown]
	v_cmp_eq_u32_e32 vcc_lo, 0x40f, v36
	s_wait_alu 0xfffd
	v_cndmask_b32_e32 v0, v14, v0, vcc_lo
	v_cmp_eq_u32_e32 vcc_lo, 0x40f, v44
	s_delay_alu instid0(VALU_DEP_2) | instskip(SKIP_3) | instid1(VALU_DEP_3)
	v_and_or_b32 v0, 0x8000, v1, v0
	s_wait_alu 0xfffd
	v_cndmask_b32_e32 v14, v43, v15, vcc_lo
	v_cmp_eq_u32_e32 vcc_lo, 0x40f, v46
	v_and_b32_e32 v0, 0xffff, v0
	s_delay_alu instid0(VALU_DEP_3)
	v_and_or_b32 v1, 0x8000, v16, v14
	s_wait_alu 0xfffd
	v_cndmask_b32_e32 v8, v45, v8, vcc_lo
	v_cmp_eq_u32_e32 vcc_lo, 0x40f, v48
	s_wait_loadcnt 0x3
	v_lshrrev_b32_e32 v16, 16, v4
	v_lshl_or_b32 v0, v1, 16, v0
	v_and_or_b32 v8, 0x8000, v9, v8
	s_wait_alu 0xfffd
	v_cndmask_b32_e32 v12, v47, v12, vcc_lo
	v_cmp_eq_u32_e32 vcc_lo, 0x40f, v50
	s_delay_alu instid0(VALU_DEP_3) | instskip(NEXT) | instid1(VALU_DEP_3)
	v_and_b32_e32 v8, 0xffff, v8
	v_and_or_b32 v9, 0x8000, v13, v12
	s_wait_alu 0xfffd
	v_cndmask_b32_e32 v15, v49, v18, vcc_lo
	v_cmp_eq_u32_e32 vcc_lo, 0x40f, v52
	s_delay_alu instid0(VALU_DEP_3) | instskip(NEXT) | instid1(VALU_DEP_3)
	v_lshl_or_b32 v1, v9, 16, v8
	v_and_or_b32 v12, 0x8000, v19, v15
	s_wait_alu 0xfffd
	v_cndmask_b32_e32 v6, v51, v6, vcc_lo
	v_cmp_eq_u32_e32 vcc_lo, 0x40f, v54
	s_delay_alu instid0(VALU_DEP_3) | instskip(NEXT) | instid1(VALU_DEP_3)
	v_and_b32_e32 v12, 0xffff, v12
	v_and_or_b32 v6, 0x8000, v7, v6
	s_wait_alu 0xfffd
	v_cndmask_b32_e32 v18, v53, v24, vcc_lo
	v_cmp_eq_u32_e32 vcc_lo, 0x40f, v56
	s_delay_alu instid0(VALU_DEP_3) | instskip(NEXT) | instid1(VALU_DEP_3)
	v_lshl_or_b32 v6, v6, 16, v12
	v_and_or_b32 v7, 0x8000, v25, v18
	s_wait_alu 0xfffd
	v_cndmask_b32_e32 v20, v55, v20, vcc_lo
	v_cmp_eq_u32_e32 vcc_lo, 0x40f, v58
	s_clause 0x2
	global_store_b32 v[10:11], v0, off
	global_store_b32 v[22:23], v1, off
	;; [unrolled: 1-line block ×3, first 2 shown]
	v_med3_i32 v0, v76, 0, 13
	v_and_b32_e32 v7, 0xffff, v7
	v_and_or_b32 v13, 0x8000, v21, v20
	s_wait_alu 0xfffd
	v_cndmask_b32_e32 v8, v57, v26, vcc_lo
	v_cmp_gt_i32_e32 vcc_lo, 31, v60
	v_lshrrev_b32_e32 v10, v0, v87
	v_lshl_or_b32 v6, v28, 9, 0x7c00
	v_lshl_or_b32 v7, v13, 16, v7
	v_lshrrev_b32_e32 v11, 16, v29
	s_wait_alu 0xfffd
	v_cndmask_b32_e32 v1, 0x7c00, v59, vcc_lo
	v_cmp_gt_i32_e32 vcc_lo, 1, v62
	v_lshlrev_b32_e32 v13, v0, v10
	global_store_b32 v[39:40], v7, off
	v_and_or_b32 v7, 0x8000, v27, v8
	v_lshrrev_b32_e32 v20, 8, v35
	s_wait_alu 0xfffd
	v_cndmask_b32_e32 v9, v86, v61, vcc_lo
	v_cmp_eq_u32_e32 vcc_lo, 0x40f, v60
	v_cmp_ne_u32_e64 s0, v13, v87
	v_bfe_u32 v21, v35, 20, 11
	v_lshrrev_b32_e32 v23, 16, v31
	v_and_b32_e32 v12, 7, v9
	s_wait_alu 0xfffd
	v_cndmask_b32_e32 v6, v1, v6, vcc_lo
	ds_load_2addr_b32 v[0:1], v17 offset0:94 offset1:144
	v_cmp_lt_i32_e32 vcc_lo, 5, v12
	v_and_or_b32 v14, 0x8000, v11, v6
	s_wait_alu 0xf1ff
	v_cndmask_b32_e64 v6, 0, 1, s0
	v_cmp_eq_u32_e64 s0, 3, v12
	v_and_b32_e32 v12, 0xffff, v7
	v_lshrrev_b32_e32 v7, 2, v9
	v_add_nc_u32_e32 v11, 0xfffffc10, v64
	v_or_b32_e32 v6, v10, v6
	s_or_b32 vcc_lo, s0, vcc_lo
	s_wait_alu 0xfffe
	v_add_co_ci_u32_e32 v9, vcc_lo, 0, v7, vcc_lo
	v_cmp_ne_u32_e32 vcc_lo, 0, v30
	v_lshl_or_b32 v8, v11, 12, v32
	s_wait_alu 0xfffd
	v_cndmask_b32_e64 v10, 0, 1, vcc_lo
	v_cmp_gt_i32_e32 vcc_lo, 1, v11
	s_wait_dscnt 0x0
	v_lshrrev_b32_e32 v15, 16, v0
	s_delay_alu instid0(VALU_DEP_3)
	v_lshl_or_b32 v10, v10, 9, 0x7c00
	s_wait_alu 0xfffd
	v_cndmask_b32_e32 v13, v8, v6, vcc_lo
	v_and_or_b32 v8, 0x1ff, v35, v34
	v_cmp_gt_i32_e32 vcc_lo, 31, v62
	v_mul_f64_e32 v[6:7], s[22:23], v[41:42]
	v_mul_f16_e32 v18, v15, v16
	v_and_b32_e32 v19, 7, v13
	v_lshrrev_b32_e32 v13, 2, v13
	s_wait_alu 0xfffd
	v_cndmask_b32_e32 v9, 0x7c00, v9, vcc_lo
	v_cmp_ne_u32_e32 vcc_lo, 0, v8
	v_fmac_f16_e32 v18, v0, v4
	v_cmp_eq_u32_e64 s0, 3, v19
	v_mul_f16_e32 v0, v0, v16
	s_wait_alu 0xfffd
	v_cndmask_b32_e64 v8, 0, 1, vcc_lo
	v_cmp_eq_u32_e32 vcc_lo, 0x40f, v62
	s_delay_alu instid0(VALU_DEP_3)
	v_fma_f16 v0, v4, v15, -v0
	s_wait_alu 0xfffd
	v_cndmask_b32_e32 v10, v9, v10, vcc_lo
	v_cvt_f32_f16_e32 v9, v18
	v_cmp_lt_i32_e32 vcc_lo, 5, v19
	v_and_or_b32 v18, 0xffe, v20, v8
	v_sub_nc_u32_e32 v20, 0x3f1, v21
	v_and_or_b32 v16, 0x8000, v23, v10
	v_cvt_f64_f32_e32 v[8:9], v9
	s_or_b32 vcc_lo, s0, vcc_lo
	v_or_b32_e32 v19, 0x1000, v18
	s_wait_alu 0xfffe
	v_add_co_ci_u32_e32 v13, vcc_lo, 0, v13, vcc_lo
	v_med3_i32 v20, v20, 0, 13
	v_cmp_ne_u32_e32 vcc_lo, 0, v32
	v_cvt_f32_f16_e32 v0, v0
	s_delay_alu instid0(VALU_DEP_3) | instskip(SKIP_3) | instid1(VALU_DEP_3)
	v_lshrrev_b32_e32 v24, v20, v19
	s_wait_alu 0xfffd
	v_cndmask_b32_e64 v22, 0, 1, vcc_lo
	v_cmp_gt_i32_e32 vcc_lo, 31, v11
	v_lshlrev_b32_e32 v10, v20, v24
	s_delay_alu instid0(VALU_DEP_3)
	v_lshl_or_b32 v22, v22, 9, 0x7c00
	s_wait_alu 0xfffd
	v_cndmask_b32_e32 v13, 0x7c00, v13, vcc_lo
	v_cmp_eq_u32_e32 vcc_lo, 0x40f, v11
	v_and_or_b32 v4, 0x1ff, v7, v6
	v_add_nc_u32_e32 v20, 0xfffffc10, v21
	v_lshrrev_b32_e32 v15, 8, v7
	s_wait_alu 0xfffd
	v_cndmask_b32_e32 v13, v13, v22, vcc_lo
	v_cmp_ne_u32_e32 vcc_lo, v10, v19
	v_cvt_f64_f32_e32 v[10:11], v0
	v_bfe_u32 v19, v7, 20, 11
	v_lshl_or_b32 v0, v20, 12, v18
	v_lshl_or_b32 v22, v14, 16, v12
	s_wait_alu 0xfffd
	v_cndmask_b32_e64 v6, 0, 1, vcc_lo
	v_cmp_ne_u32_e32 vcc_lo, 0, v4
	v_sub_nc_u32_e32 v21, 0x3f1, v19
	v_add_nc_u32_e32 v25, 0xfffffc10, v19
	s_delay_alu instid0(VALU_DEP_4)
	v_or_b32_e32 v6, v24, v6
	s_wait_alu 0xfffd
	v_cndmask_b32_e64 v4, 0, 1, vcc_lo
	v_cmp_gt_i32_e32 vcc_lo, 1, v20
	v_med3_i32 v21, v21, 0, 13
	v_mul_f64_e32 v[8:9], s[22:23], v[8:9]
	s_delay_alu instid0(VALU_DEP_4)
	v_and_or_b32 v4, 0xffe, v15, v4
	v_lshrrev_b32_e32 v15, 16, v33
	s_wait_alu 0xfffd
	v_cndmask_b32_e32 v0, v0, v6, vcc_lo
	v_add_co_u32 v12, vcc_lo, v39, s20
	v_or_b32_e32 v6, 0x1000, v4
	v_and_or_b32 v14, 0x8000, v15, v13
	v_and_b32_e32 v15, 0xffff, v16
	v_and_b32_e32 v16, 7, v0
	s_wait_alu 0xfffd
	v_add_co_ci_u32_e32 v13, vcc_lo, s21, v40, vcc_lo
	v_lshrrev_b32_e32 v23, v21, v6
	v_lshl_or_b32 v24, v14, 16, v15
	v_cmp_lt_i32_e32 vcc_lo, 5, v16
	v_cmp_eq_u32_e64 s0, 3, v16
	v_lshrrev_b32_e32 v16, 16, v1
	v_lshlrev_b32_e32 v14, v21, v23
	s_wait_loadcnt 0x2
	v_lshrrev_b32_e32 v21, 16, v2
	v_lshrrev_b32_e32 v0, 2, v0
	s_or_b32 vcc_lo, s0, vcc_lo
	v_lshl_or_b32 v15, v25, 12, v4
	v_cmp_ne_u32_e64 s1, v14, v6
	v_mul_f16_e32 v14, v16, v21
	s_wait_alu 0xfffe
	v_add_co_ci_u32_e32 v0, vcc_lo, 0, v0, vcc_lo
	v_cmp_ne_u32_e32 vcc_lo, 0, v18
	s_wait_alu 0xf1ff
	v_cndmask_b32_e64 v6, 0, 1, s1
	v_fmac_f16_e32 v14, v1, v2
	v_mul_f64_e32 v[10:11], s[22:23], v[10:11]
	s_wait_alu 0xfffd
	v_cndmask_b32_e64 v18, 0, 1, vcc_lo
	v_or_b32_e32 v6, v23, v6
	v_cmp_gt_i32_e32 vcc_lo, 1, v25
	v_cvt_f32_f16_e32 v14, v14
	s_delay_alu instid0(VALU_DEP_4)
	v_lshl_or_b32 v23, v18, 9, 0x7c00
	v_and_or_b32 v8, 0x1ff, v9, v8
	s_wait_alu 0xfffd
	v_cndmask_b32_e32 v6, v15, v6, vcc_lo
	v_cmp_gt_i32_e32 vcc_lo, 31, v20
	v_cvt_f64_f32_e32 v[14:15], v14
	v_cmp_ne_u32_e64 s0, 0, v8
	s_delay_alu instid0(VALU_DEP_4)
	v_and_b32_e32 v26, 7, v6
	s_wait_alu 0xfffd
	v_cndmask_b32_e32 v0, 0x7c00, v0, vcc_lo
	v_add_co_u32 v18, vcc_lo, v12, s20
	s_wait_alu 0xfffd
	v_add_co_ci_u32_e32 v19, vcc_lo, s21, v13, vcc_lo
	v_cmp_eq_u32_e32 vcc_lo, 0x40f, v20
	s_wait_alu 0xf1ff
	v_cndmask_b32_e64 v8, 0, 1, s0
	v_cmp_eq_u32_e64 s0, 3, v26
	v_lshrrev_b32_e32 v6, 2, v6
	v_lshrrev_b32_e32 v20, 8, v9
	s_wait_alu 0xfffd
	v_cndmask_b32_e32 v0, v0, v23, vcc_lo
	v_cmp_lt_i32_e32 vcc_lo, 5, v26
	v_bfe_u32 v23, v9, 20, 11
	v_lshrrev_b32_e32 v26, 16, v35
	v_and_or_b32 v8, 0xffe, v20, v8
	v_lshrrev_b32_e32 v9, 16, v9
	s_or_b32 vcc_lo, s0, vcc_lo
	v_sub_nc_u32_e32 v20, 0x3f1, v23
	s_wait_alu 0xfffe
	v_add_co_ci_u32_e32 v6, vcc_lo, 0, v6, vcc_lo
	v_cmp_ne_u32_e32 vcc_lo, 0, v4
	v_or_b32_e32 v27, 0x1000, v8
	v_med3_i32 v20, v20, 0, 13
	v_and_or_b32 v26, 0x8000, v26, v0
	v_and_or_b32 v0, 0x1ff, v11, v10
	s_wait_alu 0xfffd
	v_cndmask_b32_e64 v4, 0, 1, vcc_lo
	v_cmp_gt_i32_e32 vcc_lo, 31, v25
	v_lshrrev_b32_e32 v28, v20, v27
	v_lshrrev_b32_e32 v10, 16, v7
	v_mul_f16_e32 v7, v1, v21
	v_lshl_or_b32 v4, v4, 9, 0x7c00
	s_wait_alu 0xfffd
	v_cndmask_b32_e32 v6, 0x7c00, v6, vcc_lo
	v_cmp_eq_u32_e32 vcc_lo, 0x40f, v25
	v_lshrrev_b32_e32 v21, 8, v11
	v_bfe_u32 v25, v11, 20, 11
	v_fma_f16 v2, v2, v16, -v7
	s_wait_alu 0xfffd
	v_dual_cndmask_b32 v4, v6, v4 :: v_dual_add_nc_u32 v23, 0xfffffc10, v23
	v_lshlrev_b32_e32 v6, v20, v28
	v_cmp_ne_u32_e32 vcc_lo, 0, v0
	v_mul_f64_e32 v[0:1], s[22:23], v[14:15]
	v_sub_nc_u32_e32 v15, 0x3f1, v25
	v_cvt_f32_f16_e32 v2, v2
	v_lshrrev_b32_e32 v11, 16, v11
	s_wait_alu 0xfffd
	v_cndmask_b32_e64 v20, 0, 1, vcc_lo
	v_cmp_ne_u32_e32 vcc_lo, v6, v27
	ds_load_2addr_b32 v[6:7], v17 offset0:194 offset1:244
	v_lshl_or_b32 v17, v23, 12, v8
	v_med3_i32 v27, v15, 0, 13
	v_and_or_b32 v20, 0xffe, v21, v20
	s_wait_alu 0xfffd
	v_cndmask_b32_e64 v14, 0, 1, vcc_lo
	v_cmp_gt_i32_e32 vcc_lo, 1, v23
	global_store_b32 v[12:13], v22, off
	global_store_b32 v[18:19], v24, off
	v_or_b32_e32 v21, 0x1000, v20
	v_or_b32_e32 v16, v28, v14
	v_cvt_f64_f32_e32 v[14:15], v2
	v_and_or_b32 v2, 0x8000, v10, v4
	v_and_b32_e32 v4, 0xffff, v26
	s_wait_alu 0xfffd
	v_cndmask_b32_e32 v10, v17, v16, vcc_lo
	v_lshrrev_b32_e32 v16, v27, v21
	v_add_co_u32 v12, vcc_lo, v18, s20
	v_lshl_or_b32 v22, v2, 16, v4
	s_delay_alu instid0(VALU_DEP_4) | instskip(NEXT) | instid1(VALU_DEP_4)
	v_and_b32_e32 v2, 7, v10
	v_lshlrev_b32_e32 v4, v27, v16
	s_wait_alu 0xfffd
	v_add_co_ci_u32_e32 v13, vcc_lo, s21, v19, vcc_lo
	s_wait_dscnt 0x0
	v_lshrrev_b32_e32 v18, 16, v6
	s_wait_loadcnt 0x1
	v_lshrrev_b32_e32 v19, 16, v3
	v_cmp_ne_u32_e64 s0, v4, v21
	v_cmp_lt_i32_e32 vcc_lo, 5, v2
	v_add_nc_u32_e32 v21, 0xfffffc10, v25
	s_delay_alu instid0(VALU_DEP_4)
	v_mul_f16_e32 v17, v18, v19
	s_wait_alu 0xf1ff
	v_cndmask_b32_e64 v4, 0, 1, s0
	v_cmp_eq_u32_e64 s0, 3, v2
	v_lshrrev_b32_e32 v2, 2, v10
	v_lshl_or_b32 v10, v21, 12, v20
	v_fmac_f16_e32 v17, v6, v3
	v_or_b32_e32 v4, v16, v4
	s_or_b32 vcc_lo, s0, vcc_lo
	v_and_or_b32 v0, 0x1ff, v1, v0
	s_wait_alu 0xfffe
	v_add_co_ci_u32_e32 v2, vcc_lo, 0, v2, vcc_lo
	v_cmp_gt_i32_e32 vcc_lo, 1, v21
	v_cvt_f32_f16_e32 v16, v17
	v_bfe_u32 v24, v1, 20, 11
	v_mul_f16_e32 v6, v6, v19
	s_wait_loadcnt 0x0
	v_lshrrev_b32_e32 v19, 16, v5
	s_wait_alu 0xfffd
	v_cndmask_b32_e32 v4, v10, v4, vcc_lo
	v_cmp_ne_u32_e32 vcc_lo, 0, v0
	v_cvt_f64_f32_e32 v[16:17], v16
	v_lshrrev_b32_e32 v10, 8, v1
	v_cmp_eq_u32_e64 s1, 0x40f, v23
	v_mul_f64_e32 v[14:15], s[22:23], v[14:15]
	s_wait_alu 0xfffd
	v_cndmask_b32_e64 v0, 0, 1, vcc_lo
	v_cmp_ne_u32_e32 vcc_lo, 0, v8
	v_fma_f16 v3, v3, v18, -v6
	v_lshrrev_b32_e32 v18, 16, v7
	s_delay_alu instid0(VALU_DEP_4)
	v_and_or_b32 v0, 0xffe, v10, v0
	s_wait_alu 0xfffd
	v_cndmask_b32_e64 v8, 0, 1, vcc_lo
	v_cmp_gt_i32_e32 vcc_lo, 31, v23
	v_and_b32_e32 v25, 7, v4
	v_sub_nc_u32_e32 v10, 0x3f1, v24
	v_lshrrev_b32_e32 v4, 2, v4
	v_lshl_or_b32 v8, v8, 9, 0x7c00
	s_wait_alu 0xfffd
	v_cndmask_b32_e32 v2, 0x7c00, v2, vcc_lo
	v_cmp_lt_i32_e32 vcc_lo, 5, v25
	v_cmp_eq_u32_e64 s0, 3, v25
	v_or_b32_e32 v26, 0x1000, v0
	v_med3_i32 v10, v10, 0, 13
	s_wait_alu 0xf1ff
	v_cndmask_b32_e64 v2, v2, v8, s1
	v_add_nc_u32_e32 v24, 0xfffffc10, v24
	s_or_b32 vcc_lo, s0, vcc_lo
	v_cvt_f32_f16_e32 v3, v3
	s_wait_alu 0xfffe
	v_add_co_ci_u32_e32 v4, vcc_lo, 0, v4, vcc_lo
	v_lshrrev_b32_e32 v8, v10, v26
	v_cmp_ne_u32_e32 vcc_lo, 0, v20
	v_and_or_b32 v23, 0x8000, v9, v2
	s_delay_alu instid0(VALU_DEP_3) | instskip(SKIP_3) | instid1(VALU_DEP_2)
	v_lshlrev_b32_e32 v10, v10, v8
	s_wait_alu 0xfffd
	v_cndmask_b32_e64 v20, 0, 1, vcc_lo
	v_cmp_gt_i32_e32 vcc_lo, 31, v21
	v_lshl_or_b32 v20, v20, 9, 0x7c00
	s_wait_alu 0xfffd
	v_cndmask_b32_e32 v4, 0x7c00, v4, vcc_lo
	v_cmp_ne_u32_e32 vcc_lo, v10, v26
	v_and_or_b32 v14, 0x1ff, v15, v14
	s_wait_alu 0xfffd
	v_cndmask_b32_e64 v10, 0, 1, vcc_lo
	v_cmp_eq_u32_e32 vcc_lo, 0x40f, v21
	v_mul_f16_e32 v21, v18, v19
	s_wait_alu 0xfffd
	v_cndmask_b32_e32 v2, v4, v20, vcc_lo
	v_or_b32_e32 v4, v8, v10
	v_mul_f64_e32 v[8:9], s[22:23], v[16:17]
	v_lshl_or_b32 v10, v24, 12, v0
	v_cmp_gt_i32_e32 vcc_lo, 1, v24
	v_fmac_f16_e32 v21, v7, v5
	v_mul_f16_e32 v7, v7, v19
	v_and_or_b32 v11, 0x8000, v11, v2
	v_cvt_f64_f32_e32 v[2:3], v3
	s_delay_alu instid0(VALU_DEP_3) | instskip(NEXT) | instid1(VALU_DEP_1)
	v_fma_f16 v5, v5, v18, -v7
	v_cvt_f32_f16_e32 v5, v5
	v_bfe_u32 v19, v9, 20, 11
	s_wait_alu 0xfffd
	v_cndmask_b32_e32 v4, v10, v4, vcc_lo
	v_cmp_ne_u32_e32 vcc_lo, 0, v14
	v_lshrrev_b32_e32 v10, 8, v15
	v_bfe_u32 v14, v15, 20, 11
	s_delay_alu instid0(VALU_DEP_4)
	v_and_b32_e32 v16, 7, v4
	s_wait_alu 0xfffd
	v_cndmask_b32_e64 v6, 0, 1, vcc_lo
	v_lshrrev_b32_e32 v4, 2, v4
	v_mul_f64_e32 v[2:3], s[22:23], v[2:3]
	v_cmp_lt_i32_e32 vcc_lo, 5, v16
	s_delay_alu instid0(VALU_DEP_4) | instskip(SKIP_3) | instid1(VALU_DEP_4)
	v_and_or_b32 v17, 0xffe, v10, v6
	v_sub_nc_u32_e32 v6, 0x3f1, v14
	v_cmp_eq_u32_e64 s0, 3, v16
	v_and_b32_e32 v10, 0xffff, v23
	v_or_b32_e32 v20, 0x1000, v17
	s_delay_alu instid0(VALU_DEP_4) | instskip(NEXT) | instid1(VALU_DEP_4)
	v_med3_i32 v6, v6, 0, 13
	s_or_b32 vcc_lo, s0, vcc_lo
	s_delay_alu instid0(VALU_DEP_3)
	v_lshl_or_b32 v16, v11, 16, v10
	s_wait_alu 0xfffe
	v_add_co_ci_u32_e32 v4, vcc_lo, 0, v4, vcc_lo
	v_lshrrev_b32_e32 v23, v6, v20
	v_cmp_ne_u32_e32 vcc_lo, 0, v0
	v_cvt_f32_f16_e32 v10, v21
	s_delay_alu instid0(VALU_DEP_3) | instskip(SKIP_4) | instid1(VALU_DEP_3)
	v_lshlrev_b32_e32 v6, v6, v23
	s_wait_alu 0xfffd
	v_cndmask_b32_e64 v0, 0, 1, vcc_lo
	v_cmp_gt_i32_e32 vcc_lo, 31, v24
	v_cvt_f64_f32_e32 v[10:11], v10
	v_lshl_or_b32 v0, v0, 9, 0x7c00
	s_wait_alu 0xfffd
	v_cndmask_b32_e32 v21, 0x7c00, v4, vcc_lo
	v_and_or_b32 v4, 0x1ff, v9, v8
	v_cmp_ne_u32_e32 vcc_lo, v6, v20
	v_add_nc_u32_e32 v8, 0xfffffc10, v14
	v_lshrrev_b32_e32 v14, 8, v9
	v_lshrrev_b32_e32 v9, 16, v9
	s_wait_alu 0xfffd
	v_cndmask_b32_e64 v6, 0, 1, vcc_lo
	v_cmp_ne_u32_e32 vcc_lo, 0, v4
	v_lshl_or_b32 v7, v8, 12, v17
	s_delay_alu instid0(VALU_DEP_3) | instskip(SKIP_4) | instid1(VALU_DEP_3)
	v_or_b32_e32 v6, v23, v6
	s_wait_alu 0xfffd
	v_cndmask_b32_e64 v4, 0, 1, vcc_lo
	v_cmp_gt_i32_e32 vcc_lo, 1, v8
	v_and_or_b32 v2, 0x1ff, v3, v2
	v_and_or_b32 v14, 0xffe, v14, v4
	v_sub_nc_u32_e32 v4, 0x3f1, v19
	s_wait_alu 0xfffd
	v_dual_cndmask_b32 v6, v7, v6 :: v_dual_add_nc_u32 v19, 0xfffffc10, v19
	v_cmp_eq_u32_e32 vcc_lo, 0x40f, v24
	v_or_b32_e32 v7, 0x1000, v14
	v_med3_i32 v18, v4, 0, 13
	v_cvt_f64_f32_e32 v[4:5], v5
	s_wait_alu 0xfffd
	v_dual_cndmask_b32 v20, v21, v0 :: v_dual_and_b32 v23, 7, v6
	v_lshrrev_b32_e32 v21, 16, v1
	v_lshrrev_b32_e32 v24, v18, v7
	v_add_co_u32 v0, vcc_lo, v12, s20
	s_wait_alu 0xfffd
	v_add_co_ci_u32_e32 v1, vcc_lo, s21, v13, vcc_lo
	v_cmp_lt_i32_e32 vcc_lo, 5, v23
	v_cmp_eq_u32_e64 s0, 3, v23
	v_lshlrev_b32_e32 v18, v18, v24
	v_and_or_b32 v20, 0x8000, v21, v20
	v_lshrrev_b32_e32 v21, 2, v6
	s_delay_alu instid0(VALU_DEP_4) | instskip(NEXT) | instid1(VALU_DEP_3)
	s_or_b32 vcc_lo, s0, vcc_lo
	v_cmp_ne_u32_e64 s1, v18, v7
	v_mul_f64_e32 v[6:7], s[22:23], v[10:11]
	s_wait_alu 0xfffe
	v_add_co_ci_u32_e32 v10, vcc_lo, 0, v21, vcc_lo
	v_cmp_ne_u32_e32 vcc_lo, 0, v17
	s_wait_alu 0xf1ff
	v_cndmask_b32_e64 v18, 0, 1, s1
	s_wait_alu 0xfffd
	v_cndmask_b32_e64 v11, 0, 1, vcc_lo
	v_cmp_gt_i32_e32 vcc_lo, 31, v8
	s_delay_alu instid0(VALU_DEP_3) | instskip(SKIP_1) | instid1(VALU_DEP_4)
	v_or_b32_e32 v17, v24, v18
	v_lshl_or_b32 v18, v19, 12, v14
	v_lshl_or_b32 v11, v11, 9, 0x7c00
	s_wait_alu 0xfffd
	v_cndmask_b32_e32 v10, 0x7c00, v10, vcc_lo
	v_cmp_gt_i32_e32 vcc_lo, 1, v19
	s_wait_alu 0xfffd
	v_cndmask_b32_e32 v17, v18, v17, vcc_lo
	v_cmp_eq_u32_e32 vcc_lo, 0x40f, v8
	v_bfe_u32 v18, v3, 20, 11
	v_mul_f64_e32 v[4:5], s[22:23], v[4:5]
	s_wait_alu 0xfffd
	v_cndmask_b32_e32 v8, v10, v11, vcc_lo
	v_lshrrev_b32_e32 v10, 16, v15
	v_cmp_ne_u32_e32 vcc_lo, 0, v2
	v_and_b32_e32 v11, 7, v17
	v_lshrrev_b32_e32 v15, 8, v3
	v_lshrrev_b32_e32 v3, 16, v3
	v_and_or_b32 v8, 0x8000, v10, v8
	v_and_b32_e32 v10, 0xffff, v20
	s_wait_alu 0xfffd
	v_cndmask_b32_e64 v2, 0, 1, vcc_lo
	v_cmp_lt_i32_e32 vcc_lo, 5, v11
	v_cmp_eq_u32_e64 s0, 3, v11
	v_lshl_or_b32 v8, v8, 16, v10
	v_lshrrev_b32_e32 v10, 2, v17
	v_and_or_b32 v2, 0xffe, v15, v2
	v_sub_nc_u32_e32 v15, 0x3f1, v18
	s_or_b32 vcc_lo, s0, vcc_lo
	v_and_or_b32 v6, 0x1ff, v7, v6
	s_wait_alu 0xfffe
	v_add_co_ci_u32_e32 v10, vcc_lo, 0, v10, vcc_lo
	v_or_b32_e32 v11, 0x1000, v2
	v_med3_i32 v15, v15, 0, 13
	v_cmp_ne_u32_e32 vcc_lo, 0, v14
	v_lshrrev_b32_e32 v20, 8, v7
	v_bfe_u32 v21, v7, 20, 11
	v_lshrrev_b32_e32 v7, 16, v7
	v_lshrrev_b32_e32 v17, v15, v11
	s_wait_alu 0xfffd
	v_cndmask_b32_e64 v14, 0, 1, vcc_lo
	v_cmp_gt_i32_e32 vcc_lo, 31, v19
	s_delay_alu instid0(VALU_DEP_3) | instskip(NEXT) | instid1(VALU_DEP_3)
	v_lshlrev_b32_e32 v15, v15, v17
	v_lshl_or_b32 v14, v14, 9, 0x7c00
	s_wait_alu 0xfffd
	v_cndmask_b32_e32 v10, 0x7c00, v10, vcc_lo
	v_cmp_ne_u32_e32 vcc_lo, 0, v6
	v_and_or_b32 v4, 0x1ff, v5, v4
	s_wait_alu 0xfffd
	v_cndmask_b32_e64 v6, 0, 1, vcc_lo
	v_cmp_ne_u32_e32 vcc_lo, v15, v11
	v_add_nc_u32_e32 v15, 0xfffffc10, v18
	v_sub_nc_u32_e32 v18, 0x3f1, v21
	s_delay_alu instid0(VALU_DEP_4)
	v_and_or_b32 v6, 0xffe, v20, v6
	s_wait_alu 0xfffd
	v_cndmask_b32_e64 v11, 0, 1, vcc_lo
	v_cmp_eq_u32_e32 vcc_lo, 0x40f, v19
	v_med3_i32 v18, v18, 0, 13
	v_lshrrev_b32_e32 v19, 8, v5
	v_bfe_u32 v20, v5, 20, 11
	v_or_b32_e32 v11, v17, v11
	s_wait_alu 0xfffd
	v_cndmask_b32_e32 v10, v10, v14, vcc_lo
	v_lshl_or_b32 v14, v15, 12, v2
	v_or_b32_e32 v17, 0x1000, v6
	v_cmp_gt_i32_e32 vcc_lo, 1, v15
	v_lshrrev_b32_e32 v5, 16, v5
	s_wait_alu 0xfffd
	v_cndmask_b32_e32 v11, v14, v11, vcc_lo
	v_lshrrev_b32_e32 v14, v18, v17
	v_cmp_ne_u32_e32 vcc_lo, 0, v4
	s_delay_alu instid0(VALU_DEP_3) | instskip(NEXT) | instid1(VALU_DEP_3)
	v_and_b32_e32 v23, 7, v11
	v_lshlrev_b32_e32 v18, v18, v14
	s_wait_alu 0xfffd
	v_cndmask_b32_e64 v4, 0, 1, vcc_lo
	v_lshrrev_b32_e32 v11, 2, v11
	v_cmp_lt_i32_e32 vcc_lo, 5, v23
	v_cmp_ne_u32_e64 s0, v18, v17
	s_delay_alu instid0(VALU_DEP_4)
	v_and_or_b32 v4, 0xffe, v19, v4
	v_add_nc_u32_e32 v19, 0xfffffc10, v21
	v_and_or_b32 v9, 0x8000, v9, v10
	v_sub_nc_u32_e32 v10, 0x3f1, v20
	s_wait_alu 0xf1ff
	v_cndmask_b32_e64 v17, 0, 1, s0
	v_cmp_eq_u32_e64 s0, 3, v23
	v_or_b32_e32 v18, 0x1000, v4
	v_lshl_or_b32 v21, v19, 12, v6
	v_med3_i32 v10, v10, 0, 13
	v_or_b32_e32 v14, v14, v17
	s_or_b32 vcc_lo, s0, vcc_lo
	v_and_b32_e32 v9, 0xffff, v9
	s_wait_alu 0xfffe
	v_add_co_ci_u32_e32 v11, vcc_lo, 0, v11, vcc_lo
	v_lshrrev_b32_e32 v17, v10, v18
	v_cmp_gt_i32_e32 vcc_lo, 1, v19
	s_delay_alu instid0(VALU_DEP_2)
	v_lshlrev_b32_e32 v10, v10, v17
	s_wait_alu 0xfffd
	v_cndmask_b32_e32 v14, v21, v14, vcc_lo
	v_cmp_ne_u32_e32 vcc_lo, 0, v2
	s_wait_alu 0xfffd
	v_cndmask_b32_e64 v2, 0, 1, vcc_lo
	v_cmp_ne_u32_e32 vcc_lo, v10, v18
	v_add_nc_u32_e32 v18, 0xfffffc10, v20
	v_and_b32_e32 v20, 7, v14
	s_delay_alu instid0(VALU_DEP_4)
	v_lshl_or_b32 v2, v2, 9, 0x7c00
	s_wait_alu 0xfffd
	v_cndmask_b32_e64 v10, 0, 1, vcc_lo
	v_cmp_gt_i32_e32 vcc_lo, 31, v15
	v_cmp_gt_i32_e64 s1, 1, v18
	v_cmp_eq_u32_e64 s0, 3, v20
	s_delay_alu instid0(VALU_DEP_4)
	v_or_b32_e32 v10, v17, v10
	v_lshl_or_b32 v17, v18, 12, v4
	s_wait_alu 0xfffd
	v_cndmask_b32_e32 v11, 0x7c00, v11, vcc_lo
	v_cmp_lt_i32_e32 vcc_lo, 5, v20
	s_wait_alu 0xf1ff
	v_cndmask_b32_e64 v10, v17, v10, s1
	v_cmp_eq_u32_e64 s1, 0x40f, v15
	s_or_b32 vcc_lo, s0, vcc_lo
	s_delay_alu instid0(VALU_DEP_1)
	v_cndmask_b32_e64 v2, v11, v2, s1
	v_lshrrev_b32_e32 v11, 2, v14
	v_and_b32_e32 v14, 7, v10
	v_lshrrev_b32_e32 v10, 2, v10
	v_cmp_gt_i32_e64 s1, 31, v19
	s_wait_alu 0xfffe
	v_add_co_ci_u32_e32 v11, vcc_lo, 0, v11, vcc_lo
	v_cmp_ne_u32_e32 vcc_lo, 0, v6
	v_cmp_eq_u32_e64 s0, 3, v14
	s_wait_alu 0xf1ff
	s_delay_alu instid0(VALU_DEP_3) | instskip(SKIP_3) | instid1(VALU_DEP_2)
	v_cndmask_b32_e64 v11, 0x7c00, v11, s1
	s_wait_alu 0xfffd
	v_cndmask_b32_e64 v6, 0, 1, vcc_lo
	v_cmp_lt_i32_e32 vcc_lo, 5, v14
	v_lshl_or_b32 v6, v6, 9, 0x7c00
	s_or_b32 vcc_lo, s0, vcc_lo
	s_wait_alu 0xfffe
	v_add_co_ci_u32_e32 v10, vcc_lo, 0, v10, vcc_lo
	v_cmp_ne_u32_e32 vcc_lo, 0, v4
	s_wait_alu 0xfffd
	v_cndmask_b32_e64 v4, 0, 1, vcc_lo
	v_cmp_eq_u32_e32 vcc_lo, 0x40f, v19
	s_delay_alu instid0(VALU_DEP_2) | instskip(SKIP_4) | instid1(VALU_DEP_3)
	v_lshl_or_b32 v4, v4, 9, 0x7c00
	s_wait_alu 0xfffd
	v_cndmask_b32_e32 v6, v11, v6, vcc_lo
	v_cmp_gt_i32_e32 vcc_lo, 31, v18
	v_and_or_b32 v11, 0x8000, v3, v2
	v_and_or_b32 v6, 0x8000, v7, v6
	s_wait_alu 0xfffd
	v_cndmask_b32_e32 v10, 0x7c00, v10, vcc_lo
	v_cmp_eq_u32_e32 vcc_lo, 0x40f, v18
	v_lshl_or_b32 v9, v11, 16, v9
	v_and_b32_e32 v6, 0xffff, v6
	s_wait_alu 0xfffd
	v_cndmask_b32_e32 v4, v10, v4, vcc_lo
	v_add_co_u32 v2, vcc_lo, v0, s20
	s_wait_alu 0xfffd
	v_add_co_ci_u32_e32 v3, vcc_lo, s21, v1, vcc_lo
	s_delay_alu instid0(VALU_DEP_3) | instskip(NEXT) | instid1(VALU_DEP_3)
	v_and_or_b32 v7, 0x8000, v5, v4
	v_add_co_u32 v4, vcc_lo, v2, s20
	s_wait_alu 0xfffd
	s_delay_alu instid0(VALU_DEP_3) | instskip(NEXT) | instid1(VALU_DEP_3)
	v_add_co_ci_u32_e32 v5, vcc_lo, s21, v3, vcc_lo
	v_lshl_or_b32 v10, v7, 16, v6
	s_delay_alu instid0(VALU_DEP_3) | instskip(SKIP_1) | instid1(VALU_DEP_3)
	v_add_co_u32 v6, vcc_lo, v4, s20
	s_wait_alu 0xfffd
	v_add_co_ci_u32_e32 v7, vcc_lo, s21, v5, vcc_lo
	global_store_b32 v[12:13], v22, off
	global_store_b32 v[0:1], v16, off
	;; [unrolled: 1-line block ×5, first 2 shown]
.LBB0_15:
	s_nop 0
	s_sendmsg sendmsg(MSG_DEALLOC_VGPRS)
	s_endpgm
	.section	.rodata,"a",@progbits
	.p2align	6, 0x0
	.amdhsa_kernel bluestein_single_back_len550_dim1_half_op_CI_CI
		.amdhsa_group_segment_fixed_size 2200
		.amdhsa_private_segment_fixed_size 0
		.amdhsa_kernarg_size 104
		.amdhsa_user_sgpr_count 2
		.amdhsa_user_sgpr_dispatch_ptr 0
		.amdhsa_user_sgpr_queue_ptr 0
		.amdhsa_user_sgpr_kernarg_segment_ptr 1
		.amdhsa_user_sgpr_dispatch_id 0
		.amdhsa_user_sgpr_private_segment_size 0
		.amdhsa_wavefront_size32 1
		.amdhsa_uses_dynamic_stack 0
		.amdhsa_enable_private_segment 0
		.amdhsa_system_sgpr_workgroup_id_x 1
		.amdhsa_system_sgpr_workgroup_id_y 0
		.amdhsa_system_sgpr_workgroup_id_z 0
		.amdhsa_system_sgpr_workgroup_info 0
		.amdhsa_system_vgpr_workitem_id 0
		.amdhsa_next_free_vgpr 134
		.amdhsa_next_free_sgpr 24
		.amdhsa_reserve_vcc 1
		.amdhsa_float_round_mode_32 0
		.amdhsa_float_round_mode_16_64 0
		.amdhsa_float_denorm_mode_32 3
		.amdhsa_float_denorm_mode_16_64 3
		.amdhsa_fp16_overflow 0
		.amdhsa_workgroup_processor_mode 1
		.amdhsa_memory_ordered 1
		.amdhsa_forward_progress 0
		.amdhsa_round_robin_scheduling 0
		.amdhsa_exception_fp_ieee_invalid_op 0
		.amdhsa_exception_fp_denorm_src 0
		.amdhsa_exception_fp_ieee_div_zero 0
		.amdhsa_exception_fp_ieee_overflow 0
		.amdhsa_exception_fp_ieee_underflow 0
		.amdhsa_exception_fp_ieee_inexact 0
		.amdhsa_exception_int_div_zero 0
	.end_amdhsa_kernel
	.text
.Lfunc_end0:
	.size	bluestein_single_back_len550_dim1_half_op_CI_CI, .Lfunc_end0-bluestein_single_back_len550_dim1_half_op_CI_CI
                                        ; -- End function
	.section	.AMDGPU.csdata,"",@progbits
; Kernel info:
; codeLenInByte = 18944
; NumSgprs: 26
; NumVgprs: 134
; ScratchSize: 0
; MemoryBound: 0
; FloatMode: 240
; IeeeMode: 1
; LDSByteSize: 2200 bytes/workgroup (compile time only)
; SGPRBlocks: 3
; VGPRBlocks: 16
; NumSGPRsForWavesPerEU: 26
; NumVGPRsForWavesPerEU: 134
; Occupancy: 10
; WaveLimiterHint : 1
; COMPUTE_PGM_RSRC2:SCRATCH_EN: 0
; COMPUTE_PGM_RSRC2:USER_SGPR: 2
; COMPUTE_PGM_RSRC2:TRAP_HANDLER: 0
; COMPUTE_PGM_RSRC2:TGID_X_EN: 1
; COMPUTE_PGM_RSRC2:TGID_Y_EN: 0
; COMPUTE_PGM_RSRC2:TGID_Z_EN: 0
; COMPUTE_PGM_RSRC2:TIDIG_COMP_CNT: 0
	.text
	.p2alignl 7, 3214868480
	.fill 96, 4, 3214868480
	.type	__hip_cuid_332ba3f99190c26f,@object ; @__hip_cuid_332ba3f99190c26f
	.section	.bss,"aw",@nobits
	.globl	__hip_cuid_332ba3f99190c26f
__hip_cuid_332ba3f99190c26f:
	.byte	0                               ; 0x0
	.size	__hip_cuid_332ba3f99190c26f, 1

	.ident	"AMD clang version 19.0.0git (https://github.com/RadeonOpenCompute/llvm-project roc-6.4.0 25133 c7fe45cf4b819c5991fe208aaa96edf142730f1d)"
	.section	".note.GNU-stack","",@progbits
	.addrsig
	.addrsig_sym __hip_cuid_332ba3f99190c26f
	.amdgpu_metadata
---
amdhsa.kernels:
  - .args:
      - .actual_access:  read_only
        .address_space:  global
        .offset:         0
        .size:           8
        .value_kind:     global_buffer
      - .actual_access:  read_only
        .address_space:  global
        .offset:         8
        .size:           8
        .value_kind:     global_buffer
      - .actual_access:  read_only
        .address_space:  global
        .offset:         16
        .size:           8
        .value_kind:     global_buffer
      - .actual_access:  read_only
        .address_space:  global
        .offset:         24
        .size:           8
        .value_kind:     global_buffer
      - .actual_access:  read_only
        .address_space:  global
        .offset:         32
        .size:           8
        .value_kind:     global_buffer
      - .offset:         40
        .size:           8
        .value_kind:     by_value
      - .address_space:  global
        .offset:         48
        .size:           8
        .value_kind:     global_buffer
      - .address_space:  global
        .offset:         56
        .size:           8
        .value_kind:     global_buffer
      - .address_space:  global
        .offset:         64
        .size:           8
        .value_kind:     global_buffer
      - .address_space:  global
        .offset:         72
        .size:           8
        .value_kind:     global_buffer
      - .offset:         80
        .size:           4
        .value_kind:     by_value
      - .address_space:  global
        .offset:         88
        .size:           8
        .value_kind:     global_buffer
      - .address_space:  global
        .offset:         96
        .size:           8
        .value_kind:     global_buffer
    .group_segment_fixed_size: 2200
    .kernarg_segment_align: 8
    .kernarg_segment_size: 104
    .language:       OpenCL C
    .language_version:
      - 2
      - 0
    .max_flat_workgroup_size: 55
    .name:           bluestein_single_back_len550_dim1_half_op_CI_CI
    .private_segment_fixed_size: 0
    .sgpr_count:     26
    .sgpr_spill_count: 0
    .symbol:         bluestein_single_back_len550_dim1_half_op_CI_CI.kd
    .uniform_work_group_size: 1
    .uses_dynamic_stack: false
    .vgpr_count:     134
    .vgpr_spill_count: 0
    .wavefront_size: 32
    .workgroup_processor_mode: 1
amdhsa.target:   amdgcn-amd-amdhsa--gfx1201
amdhsa.version:
  - 1
  - 2
...

	.end_amdgpu_metadata
